;; amdgpu-corpus repo=zjin-lcf/HeCBench kind=compiled arch=gfx1030 opt=O3
	.amdgcn_target "amdgcn-amd-amdhsa--gfx1030"
	.amdhsa_code_object_version 6
	.text
	.protected	_Z7set_BCsPdS_          ; -- Begin function _Z7set_BCsPdS_
	.globl	_Z7set_BCsPdS_
	.p2align	8
	.type	_Z7set_BCsPdS_,@function
_Z7set_BCsPdS_:                         ; @_Z7set_BCsPdS_
; %bb.0:
	s_load_dword s0, s[4:5], 0x1c
	s_mov_b32 s2, 0
	s_mov_b32 s3, s2
	v_mov_b32_e32 v11, s3
	v_mov_b32_e32 v10, s2
	s_waitcnt lgkmcnt(0)
	s_and_b32 s0, s0, 0xffff
	v_mad_u64_u32 v[0:1], null, s6, s0, v[0:1]
	s_load_dwordx4 s[4:7], s[4:5], 0x0
	v_add_nc_u32_e32 v22, 1, v0
	v_add_nc_u32_e32 v4, 0x40401, v0
	v_ashrrev_i32_e32 v1, 31, v0
	v_add_nc_u32_e32 v6, 0x203, v0
	v_add_nc_u32_e32 v20, 0x40603, v0
	v_mul_lo_u32 v2, 0x202, v22
	v_ashrrev_i32_e32 v5, 31, v4
	v_lshlrev_b64 v[8:9], 3, v[0:1]
	v_ashrrev_i32_e32 v7, 31, v6
	v_ashrrev_i32_e32 v21, 31, v20
	v_lshlrev_b64 v[4:5], 3, v[4:5]
	v_lshlrev_b64 v[6:7], 3, v[6:7]
	v_ashrrev_i32_e32 v3, 31, v2
	s_waitcnt lgkmcnt(0)
	v_add_co_u32 v12, vcc_lo, s4, v8
	v_add_co_ci_u32_e64 v13, null, s5, v9, vcc_lo
	v_lshlrev_b64 v[1:2], 3, v[2:3]
	v_lshlrev_b64 v[20:21], 3, v[20:21]
	v_add_co_u32 v14, vcc_lo, s4, v1
	v_add_co_ci_u32_e64 v15, null, s5, v2, vcc_lo
	v_add_co_u32 v16, vcc_lo, s4, v4
	v_add_co_ci_u32_e64 v17, null, s5, v5, vcc_lo
	v_add_co_u32 v18, vcc_lo, 0x1000, v14
	v_add_co_ci_u32_e64 v19, null, 0, v15, vcc_lo
	global_store_dwordx2 v[12:13], v[10:11], off offset:8
	global_store_dwordx2 v[16:17], v[10:11], off
	v_add_co_u32 v6, vcc_lo, s6, v6
	global_load_dwordx2 v[12:13], v[18:19], off
	v_add_co_ci_u32_e64 v7, null, s7, v7, vcc_lo
	v_add_co_u32 v3, vcc_lo, s6, v4
	v_add_co_ci_u32_e64 v4, null, s7, v5, vcc_lo
	s_clause 0x1
	global_load_dwordx2 v[5:6], v[6:7], off
	global_load_dwordx2 v[3:4], v[3:4], off
	global_load_dwordx2 v[16:17], v[14:15], off offset:8
	v_add_co_u32 v7, s0, s6, v8
	v_add_co_ci_u32_e64 v8, null, s7, v9, s0
	v_add_co_u32 v20, s0, s6, v20
	v_cmp_eq_u32_e32 vcc_lo, 0x200, v22
	v_add_co_ci_u32_e64 v21, null, s7, v21, s0
	v_add_co_u32 v22, s0, s6, v1
	v_add_co_ci_u32_e64 v23, null, s7, v2, s0
	v_add_co_u32 v0, s0, 0x1000, v22
	v_add_co_ci_u32_e64 v1, null, 0, v23, s0
	s_waitcnt vmcnt(3)
	v_add_f64 v[12:13], -v[12:13], 2.0
	s_waitcnt vmcnt(2)
	v_xor_b32_e32 v6, 0x80000000, v6
	s_waitcnt vmcnt(1)
	v_xor_b32_e32 v4, 0x80000000, v4
	;; [unrolled: 2-line block ×3, first 2 shown]
	global_store_dwordx2 v[7:8], v[5:6], off offset:8
	global_store_dwordx2 v[20:21], v[3:4], off
	global_store_dwordx2 v[22:23], v[10:11], off
	;; [unrolled: 1-line block ×3, first 2 shown]
	global_store_dwordx2 v[18:19], v[12:13], off offset:8
	global_store_dwordx2 v[0:1], v[10:11], off
	s_and_saveexec_b32 s0, vcc_lo
	s_cbranch_execz .LBB0_2
; %bb.1:
	v_mov_b32_e32 v18, 0x1000
	v_mov_b32_e32 v19, 0x204000
	v_mov_b32_e32 v20, 0x203000
	v_mov_b32_e32 v3, 0x2000
	v_mov_b32_e32 v2, 0
	s_clause 0x2
	global_load_dwordx2 v[6:7], v18, s[4:5]
	global_load_dwordx2 v[8:9], v19, s[4:5] offset:16
	global_load_dwordx2 v[4:5], v20, s[4:5] offset:24
	s_clause 0x1
	global_load_dwordx2 v[10:11], v3, s[6:7] offset:24
	global_load_dwordx2 v[12:13], v20, s[6:7] offset:8
	;; [unrolled: 1-line block ×3, first 2 shown]
	v_mov_b32_e32 v17, s3
	v_mov_b32_e32 v3, v2
	v_mov_b32_e32 v21, 0x202000
	v_mov_b32_e32 v16, s2
	global_store_dwordx2 v21, v[16:17], s[4:5]
	s_waitcnt vmcnt(3)
	v_xor_b32_e32 v5, 0x80000000, v5
	v_add_f64 v[6:7], -v[6:7], 2.0
	v_add_f64 v[8:9], -v[8:9], 2.0
	s_waitcnt vmcnt(2)
	v_xor_b32_e32 v11, 0x80000000, v11
	s_waitcnt vmcnt(1)
	v_xor_b32_e32 v13, 0x80000000, v13
	global_store_dwordx4 v20, v[2:5], s[4:5] offset:8
	v_mov_b32_e32 v4, v10
	s_waitcnt vmcnt(0)
	v_xor_b32_e32 v15, 0x80000000, v15
	v_mov_b32_e32 v5, v11
	global_store_dwordx2 v2, v[16:17], s[6:7]
	global_store_dwordx2 v20, v[16:17], s[6:7] offset:16
	global_store_dwordx2 v19, v[12:13], s[6:7] offset:24
	global_store_dwordx2 v2, v[14:15], s[4:5]
	global_store_dwordx4 v18, v[2:5], s[6:7]
	global_store_dwordx2 v18, v[6:7], s[4:5] offset:8
	global_store_dwordx2 v19, v[8:9], s[4:5] offset:24
	global_store_dwordx2 v[0:1], v[16:17], off offset:8
.LBB0_2:
	s_endpgm
	.section	.rodata,"a",@progbits
	.p2align	6, 0x0
	.amdhsa_kernel _Z7set_BCsPdS_
		.amdhsa_group_segment_fixed_size 0
		.amdhsa_private_segment_fixed_size 0
		.amdhsa_kernarg_size 272
		.amdhsa_user_sgpr_count 6
		.amdhsa_user_sgpr_private_segment_buffer 1
		.amdhsa_user_sgpr_dispatch_ptr 0
		.amdhsa_user_sgpr_queue_ptr 0
		.amdhsa_user_sgpr_kernarg_segment_ptr 1
		.amdhsa_user_sgpr_dispatch_id 0
		.amdhsa_user_sgpr_flat_scratch_init 0
		.amdhsa_user_sgpr_private_segment_size 0
		.amdhsa_wavefront_size32 1
		.amdhsa_uses_dynamic_stack 0
		.amdhsa_system_sgpr_private_segment_wavefront_offset 0
		.amdhsa_system_sgpr_workgroup_id_x 1
		.amdhsa_system_sgpr_workgroup_id_y 0
		.amdhsa_system_sgpr_workgroup_id_z 0
		.amdhsa_system_sgpr_workgroup_info 0
		.amdhsa_system_vgpr_workitem_id 0
		.amdhsa_next_free_vgpr 24
		.amdhsa_next_free_sgpr 8
		.amdhsa_reserve_vcc 1
		.amdhsa_reserve_flat_scratch 0
		.amdhsa_float_round_mode_32 0
		.amdhsa_float_round_mode_16_64 0
		.amdhsa_float_denorm_mode_32 3
		.amdhsa_float_denorm_mode_16_64 3
		.amdhsa_dx10_clamp 1
		.amdhsa_ieee_mode 1
		.amdhsa_fp16_overflow 0
		.amdhsa_workgroup_processor_mode 1
		.amdhsa_memory_ordered 1
		.amdhsa_forward_progress 1
		.amdhsa_shared_vgpr_count 0
		.amdhsa_exception_fp_ieee_invalid_op 0
		.amdhsa_exception_fp_denorm_src 0
		.amdhsa_exception_fp_ieee_div_zero 0
		.amdhsa_exception_fp_ieee_overflow 0
		.amdhsa_exception_fp_ieee_underflow 0
		.amdhsa_exception_fp_ieee_inexact 0
		.amdhsa_exception_int_div_zero 0
	.end_amdhsa_kernel
	.text
.Lfunc_end0:
	.size	_Z7set_BCsPdS_, .Lfunc_end0-_Z7set_BCsPdS_
                                        ; -- End function
	.set _Z7set_BCsPdS_.num_vgpr, 24
	.set _Z7set_BCsPdS_.num_agpr, 0
	.set _Z7set_BCsPdS_.numbered_sgpr, 8
	.set _Z7set_BCsPdS_.num_named_barrier, 0
	.set _Z7set_BCsPdS_.private_seg_size, 0
	.set _Z7set_BCsPdS_.uses_vcc, 1
	.set _Z7set_BCsPdS_.uses_flat_scratch, 0
	.set _Z7set_BCsPdS_.has_dyn_sized_stack, 0
	.set _Z7set_BCsPdS_.has_recursion, 0
	.set _Z7set_BCsPdS_.has_indirect_call, 0
	.section	.AMDGPU.csdata,"",@progbits
; Kernel info:
; codeLenInByte = 756
; TotalNumSgprs: 10
; NumVgprs: 24
; ScratchSize: 0
; MemoryBound: 1
; FloatMode: 240
; IeeeMode: 1
; LDSByteSize: 0 bytes/workgroup (compile time only)
; SGPRBlocks: 0
; VGPRBlocks: 2
; NumSGPRsForWavesPerEU: 10
; NumVGPRsForWavesPerEU: 24
; Occupancy: 16
; WaveLimiterHint : 1
; COMPUTE_PGM_RSRC2:SCRATCH_EN: 0
; COMPUTE_PGM_RSRC2:USER_SGPR: 6
; COMPUTE_PGM_RSRC2:TRAP_HANDLER: 0
; COMPUTE_PGM_RSRC2:TGID_X_EN: 1
; COMPUTE_PGM_RSRC2:TGID_Y_EN: 0
; COMPUTE_PGM_RSRC2:TGID_Z_EN: 0
; COMPUTE_PGM_RSRC2:TIDIG_COMP_CNT: 0
	.text
	.protected	_Z11calculate_FdPKdS0_Pd ; -- Begin function _Z11calculate_FdPKdS0_Pd
	.globl	_Z11calculate_FdPKdS0_Pd
	.p2align	8
	.type	_Z11calculate_FdPKdS0_Pd,@function
_Z11calculate_FdPKdS0_Pd:               ; @_Z11calculate_FdPKdS0_Pd
; %bb.0:
	s_clause 0x2
	s_load_dword s8, s[4:5], 0x2c
	s_load_dwordx2 s[2:3], s[4:5], 0x8
	s_load_dwordx2 s[0:1], s[4:5], 0x18
                                        ; implicit-def: $vgpr4_vgpr5
	s_waitcnt lgkmcnt(0)
	s_lshr_b32 s9, s8, 16
	v_mad_u64_u32 v[6:7], null, s7, s9, v[1:2]
	s_and_b32 s7, s8, 0xffff
	v_mad_u64_u32 v[2:3], null, s6, s7, v[0:1]
	s_mov_b32 s6, exec_lo
                                        ; implicit-def: $vgpr0_vgpr1
	v_add_nc_u32_e32 v7, 1, v6
	v_cmpx_ne_u32_e32 0x200, v7
	s_xor_b32 s6, exec_lo, s6
	s_cbranch_execz .LBB1_2
; %bb.1:
	v_mul_lo_u32 v0, 0x202, v7
	v_add_nc_u32_e32 v18, 1, v2
	v_mul_lo_u32 v19, 0x202, v6
	s_clause 0x1
	s_load_dwordx2 s[8:9], s[4:5], 0x10
	s_load_dwordx2 s[4:5], s[4:5], 0x0
	v_add_nc_u32_e32 v3, v0, v2
	v_add_nc_u32_e32 v0, v0, v18
	;; [unrolled: 1-line block ×4, first 2 shown]
	v_ashrrev_i32_e32 v1, 31, v0
	v_add_nc_u32_e32 v8, v20, v18
	v_add_nc_u32_e32 v18, v19, v18
	v_add_nc_u32_e32 v20, v20, v2
	v_ashrrev_i32_e32 v5, 31, v4
	v_lshlrev_b64 v[6:7], 3, v[0:1]
	v_ashrrev_i32_e32 v9, 31, v8
	v_ashrrev_i32_e32 v19, 31, v18
	;; [unrolled: 1-line block ×3, first 2 shown]
	v_lshlrev_b64 v[4:5], 3, v[4:5]
	v_add_co_u32 v10, vcc_lo, s2, v6
	v_add_co_ci_u32_e64 v11, null, s3, v7, vcc_lo
	v_add_co_u32 v4, vcc_lo, s2, v4
	v_add_co_ci_u32_e64 v5, null, s3, v5, vcc_lo
	v_lshlrev_b64 v[8:9], 3, v[8:9]
	v_lshlrev_b64 v[18:19], 3, v[18:19]
	s_clause 0x1
	global_load_dwordx2 v[10:11], v[10:11], off
	global_load_dwordx2 v[12:13], v[4:5], off
	v_ashrrev_i32_e32 v4, 31, v3
	v_lshlrev_b64 v[20:21], 3, v[20:21]
	v_add_co_u32 v14, vcc_lo, s2, v8
	v_lshlrev_b64 v[3:4], 3, v[3:4]
	v_add_co_ci_u32_e64 v15, null, s3, v9, vcc_lo
	v_add_co_u32 v16, vcc_lo, s2, v3
	v_add_co_ci_u32_e64 v17, null, s3, v4, vcc_lo
	v_add_co_u32 v18, vcc_lo, s2, v18
	s_clause 0x1
	global_load_dwordx2 v[14:15], v[14:15], off
	global_load_dwordx2 v[16:17], v[16:17], off
	v_add_co_ci_u32_e64 v19, null, s3, v19, vcc_lo
	s_waitcnt lgkmcnt(0)
	v_add_co_u32 v2, vcc_lo, s8, v3
	v_add_co_ci_u32_e64 v3, null, s9, v4, vcc_lo
	global_load_dwordx2 v[18:19], v[18:19], off
	v_add_co_u32 v4, vcc_lo, s8, v20
	v_add_co_ci_u32_e64 v5, null, s9, v21, vcc_lo
	s_clause 0x1
	global_load_dwordx2 v[2:3], v[2:3], off
	global_load_dwordx2 v[4:5], v[4:5], off
	v_add_co_u32 v6, vcc_lo, s8, v6
	v_add_co_ci_u32_e64 v7, null, s9, v7, vcc_lo
	v_add_co_u32 v8, vcc_lo, s8, v8
	v_add_co_ci_u32_e64 v9, null, s9, v9, vcc_lo
	s_clause 0x1
	global_load_dwordx2 v[6:7], v[6:7], off
	global_load_dwordx2 v[8:9], v[8:9], off
	s_mov_b32 s8, 0xcccccccd
	s_mov_b32 s9, 0x3feccccc
	s_waitcnt vmcnt(7)
	v_fma_f64 v[20:21], v[10:11], -2.0, v[12:13]
	s_waitcnt vmcnt(6)
	v_fma_f64 v[22:23], v[10:11], -2.0, v[14:15]
	v_add_f64 v[32:33], v[10:11], v[14:15]
	v_add_f64 v[14:15], v[10:11], -v[14:15]
	s_waitcnt vmcnt(5)
	v_add_f64 v[20:21], v[20:21], v[16:17]
	s_waitcnt vmcnt(4)
	v_add_f64 v[28:29], v[10:11], v[18:19]
	;; [unrolled: 2-line block ×3, first 2 shown]
	v_add_f64 v[4:5], v[10:11], v[16:17]
	v_add_f64 v[16:17], v[16:17], -v[10:11]
	v_add_f64 v[22:23], v[22:23], v[18:19]
	v_add_f64 v[18:19], v[18:19], -v[10:11]
	s_waitcnt vmcnt(0)
	v_add_f64 v[6:7], v[6:7], v[8:9]
	v_ldexp_f64 v[20:21], v[20:21], 18
	v_add_f64 v[8:9], v[10:11], v[12:13]
	v_add_f64 v[12:13], v[10:11], -v[12:13]
	v_mul_f64 v[34:35], v[28:29], v[28:29]
	v_mul_f64 v[4:5], v[4:5], v[2:3]
	v_mul_f64 v[2:3], v[16:17], |v[2:3]|
	v_mul_f64 v[18:19], v[18:19], |v[28:29]|
	v_fma_f64 v[20:21], 0x41100000, v[22:23], v[20:21]
	v_fma_f64 v[4:5], v[8:9], v[6:7], -v[4:5]
	v_fma_f64 v[2:3], v[12:13], |v[6:7]|, -v[2:3]
	v_fma_f64 v[14:15], v[14:15], |v[32:33]|, -v[18:19]
	v_div_scale_f64 v[22:23], null, 0x408f4000, 0x408f4000, v[20:21]
	v_fma_f64 v[2:3], v[2:3], s[8:9], v[4:5]
	v_rcp_f64_e32 v[24:25], v[22:23]
	v_fma_f64 v[26:27], -v[22:23], v[24:25], 1.0
	v_fma_f64 v[24:25], v[24:25], v[26:27], v[24:25]
	v_fma_f64 v[26:27], -v[22:23], v[24:25], 1.0
	v_fma_f64 v[24:25], v[24:25], v[26:27], v[24:25]
	v_div_scale_f64 v[26:27], vcc_lo, v[20:21], 0x408f4000, v[20:21]
	v_mul_f64 v[30:31], v[26:27], v[24:25]
	v_fma_f64 v[22:23], -v[22:23], v[30:31], v[26:27]
	v_fma_f64 v[26:27], v[32:33], v[32:33], -v[34:35]
	v_div_fmas_f64 v[16:17], v[22:23], v[24:25], v[30:31]
	v_fma_f64 v[14:15], v[14:15], s[8:9], v[26:27]
	v_div_fixup_f64 v[6:7], v[16:17], 0x408f4000, v[20:21]
	v_fma_f64 v[4:5], 0xc0600000, v[14:15], v[6:7]
	v_fma_f64 v[2:3], 0xc0600000, v[2:3], v[4:5]
	v_add_f64 v[2:3], v[2:3], 0
	v_fma_f64 v[4:5], s[4:5], v[2:3], v[10:11]
                                        ; implicit-def: $vgpr2_vgpr3
.LBB1_2:
	s_andn2_saveexec_b32 s4, s6
	s_cbranch_execz .LBB1_4
; %bb.3:
	v_add_nc_u32_e32 v0, 0x40401, v2
	v_ashrrev_i32_e32 v3, 31, v2
	v_ashrrev_i32_e32 v1, 31, v0
	v_lshlrev_b64 v[2:3], 3, v[2:3]
	v_lshlrev_b64 v[4:5], 3, v[0:1]
	v_add_co_u32 v6, vcc_lo, s2, v2
	v_add_co_ci_u32_e64 v7, null, s3, v3, vcc_lo
	v_add_co_u32 v4, vcc_lo, s2, v4
	v_add_co_ci_u32_e64 v5, null, s3, v5, vcc_lo
	v_add_co_u32 v2, vcc_lo, s0, v2
	s_clause 0x1
	global_load_dwordx2 v[6:7], v[6:7], off offset:8
	global_load_dwordx2 v[4:5], v[4:5], off
	v_add_co_ci_u32_e64 v3, null, s1, v3, vcc_lo
	s_waitcnt vmcnt(1)
	global_store_dwordx2 v[2:3], v[6:7], off offset:8
.LBB1_4:
	s_or_b32 exec_lo, exec_lo, s4
	v_lshlrev_b64 v[0:1], 3, v[0:1]
	v_add_co_u32 v0, vcc_lo, s0, v0
	v_add_co_ci_u32_e64 v1, null, s1, v1, vcc_lo
	s_waitcnt vmcnt(0)
	global_store_dwordx2 v[0:1], v[4:5], off
	s_endpgm
	.section	.rodata,"a",@progbits
	.p2align	6, 0x0
	.amdhsa_kernel _Z11calculate_FdPKdS0_Pd
		.amdhsa_group_segment_fixed_size 0
		.amdhsa_private_segment_fixed_size 0
		.amdhsa_kernarg_size 288
		.amdhsa_user_sgpr_count 6
		.amdhsa_user_sgpr_private_segment_buffer 1
		.amdhsa_user_sgpr_dispatch_ptr 0
		.amdhsa_user_sgpr_queue_ptr 0
		.amdhsa_user_sgpr_kernarg_segment_ptr 1
		.amdhsa_user_sgpr_dispatch_id 0
		.amdhsa_user_sgpr_flat_scratch_init 0
		.amdhsa_user_sgpr_private_segment_size 0
		.amdhsa_wavefront_size32 1
		.amdhsa_uses_dynamic_stack 0
		.amdhsa_system_sgpr_private_segment_wavefront_offset 0
		.amdhsa_system_sgpr_workgroup_id_x 1
		.amdhsa_system_sgpr_workgroup_id_y 1
		.amdhsa_system_sgpr_workgroup_id_z 0
		.amdhsa_system_sgpr_workgroup_info 0
		.amdhsa_system_vgpr_workitem_id 1
		.amdhsa_next_free_vgpr 36
		.amdhsa_next_free_sgpr 10
		.amdhsa_reserve_vcc 1
		.amdhsa_reserve_flat_scratch 0
		.amdhsa_float_round_mode_32 0
		.amdhsa_float_round_mode_16_64 0
		.amdhsa_float_denorm_mode_32 3
		.amdhsa_float_denorm_mode_16_64 3
		.amdhsa_dx10_clamp 1
		.amdhsa_ieee_mode 1
		.amdhsa_fp16_overflow 0
		.amdhsa_workgroup_processor_mode 1
		.amdhsa_memory_ordered 1
		.amdhsa_forward_progress 1
		.amdhsa_shared_vgpr_count 0
		.amdhsa_exception_fp_ieee_invalid_op 0
		.amdhsa_exception_fp_denorm_src 0
		.amdhsa_exception_fp_ieee_div_zero 0
		.amdhsa_exception_fp_ieee_overflow 0
		.amdhsa_exception_fp_ieee_underflow 0
		.amdhsa_exception_fp_ieee_inexact 0
		.amdhsa_exception_int_div_zero 0
	.end_amdhsa_kernel
	.text
.Lfunc_end1:
	.size	_Z11calculate_FdPKdS0_Pd, .Lfunc_end1-_Z11calculate_FdPKdS0_Pd
                                        ; -- End function
	.set _Z11calculate_FdPKdS0_Pd.num_vgpr, 36
	.set _Z11calculate_FdPKdS0_Pd.num_agpr, 0
	.set _Z11calculate_FdPKdS0_Pd.numbered_sgpr, 10
	.set _Z11calculate_FdPKdS0_Pd.num_named_barrier, 0
	.set _Z11calculate_FdPKdS0_Pd.private_seg_size, 0
	.set _Z11calculate_FdPKdS0_Pd.uses_vcc, 1
	.set _Z11calculate_FdPKdS0_Pd.uses_flat_scratch, 0
	.set _Z11calculate_FdPKdS0_Pd.has_dyn_sized_stack, 0
	.set _Z11calculate_FdPKdS0_Pd.has_recursion, 0
	.set _Z11calculate_FdPKdS0_Pd.has_indirect_call, 0
	.section	.AMDGPU.csdata,"",@progbits
; Kernel info:
; codeLenInByte = 1024
; TotalNumSgprs: 12
; NumVgprs: 36
; ScratchSize: 0
; MemoryBound: 0
; FloatMode: 240
; IeeeMode: 1
; LDSByteSize: 0 bytes/workgroup (compile time only)
; SGPRBlocks: 0
; VGPRBlocks: 4
; NumSGPRsForWavesPerEU: 12
; NumVGPRsForWavesPerEU: 36
; Occupancy: 16
; WaveLimiterHint : 0
; COMPUTE_PGM_RSRC2:SCRATCH_EN: 0
; COMPUTE_PGM_RSRC2:USER_SGPR: 6
; COMPUTE_PGM_RSRC2:TRAP_HANDLER: 0
; COMPUTE_PGM_RSRC2:TGID_X_EN: 1
; COMPUTE_PGM_RSRC2:TGID_Y_EN: 1
; COMPUTE_PGM_RSRC2:TGID_Z_EN: 0
; COMPUTE_PGM_RSRC2:TIDIG_COMP_CNT: 1
	.text
	.protected	_Z11calculate_GdPKdS0_Pd ; -- Begin function _Z11calculate_GdPKdS0_Pd
	.globl	_Z11calculate_GdPKdS0_Pd
	.p2align	8
	.type	_Z11calculate_GdPKdS0_Pd,@function
_Z11calculate_GdPKdS0_Pd:               ; @_Z11calculate_GdPKdS0_Pd
; %bb.0:
	s_clause 0x1
	s_load_dword s8, s[4:5], 0x2c
	s_load_dwordx4 s[0:3], s[4:5], 0x10
	s_waitcnt lgkmcnt(0)
	s_lshr_b32 s9, s8, 16
	s_and_b32 s8, s8, 0xffff
	v_mad_u64_u32 v[1:2], null, s7, s9, v[1:2]
	v_mad_u64_u32 v[3:4], null, s6, s8, v[0:1]
	v_mul_lo_u32 v6, 0x202, v1
                                        ; implicit-def: $vgpr4_vgpr5
                                        ; implicit-def: $vgpr0_vgpr1
	s_mov_b32 s6, exec_lo
	v_add_nc_u32_e32 v7, 1, v3
	v_add_nc_u32_e32 v2, 0x202, v6
	v_cmpx_ne_u32_e32 0x200, v7
	s_xor_b32 s8, exec_lo, s6
	s_cbranch_execz .LBB2_2
; %bb.1:
	v_add_nc_u32_e32 v0, v2, v7
	v_add3_u32 v4, v3, v6, 0x405
	v_add_nc_u32_e32 v20, 2, v3
	v_add_nc_u32_e32 v14, v6, v7
	s_load_dwordx4 s[4:7], s[4:5], 0x0
	v_ashrrev_i32_e32 v1, 31, v0
	v_ashrrev_i32_e32 v5, 31, v4
	v_add_nc_u32_e32 v10, v2, v20
	v_ashrrev_i32_e32 v15, 31, v14
	v_add_nc_u32_e32 v2, v2, v3
	v_lshlrev_b64 v[8:9], 3, v[0:1]
	v_lshlrev_b64 v[4:5], 3, v[4:5]
	v_ashrrev_i32_e32 v11, 31, v10
	v_lshlrev_b64 v[14:15], 3, v[14:15]
	v_ashrrev_i32_e32 v3, 31, v2
	v_add_nc_u32_e32 v6, v6, v20
	v_add_co_u32 v12, vcc_lo, s0, v8
	v_add_co_ci_u32_e64 v13, null, s1, v9, vcc_lo
	v_add_co_u32 v4, vcc_lo, s0, v4
	v_add_co_ci_u32_e64 v5, null, s1, v5, vcc_lo
	s_clause 0x1
	global_load_dwordx2 v[12:13], v[12:13], off
	global_load_dwordx2 v[4:5], v[4:5], off
	v_lshlrev_b64 v[10:11], 3, v[10:11]
	v_lshlrev_b64 v[2:3], 3, v[2:3]
	v_ashrrev_i32_e32 v7, 31, v6
	v_add_co_u32 v16, vcc_lo, s0, v10
	v_add_co_ci_u32_e64 v17, null, s1, v11, vcc_lo
	v_add_co_u32 v18, vcc_lo, s0, v14
	v_add_co_ci_u32_e64 v19, null, s1, v15, vcc_lo
	s_clause 0x1
	global_load_dwordx2 v[16:17], v[16:17], off
	global_load_dwordx2 v[18:19], v[18:19], off
	v_add_co_u32 v2, vcc_lo, s0, v2
	v_add_co_ci_u32_e64 v3, null, s1, v3, vcc_lo
	v_lshlrev_b64 v[6:7], 3, v[6:7]
	s_waitcnt lgkmcnt(0)
	v_add_co_u32 v14, vcc_lo, s6, v14
	global_load_dwordx2 v[2:3], v[2:3], off
	v_add_co_ci_u32_e64 v15, null, s7, v15, vcc_lo
	v_add_co_u32 v6, vcc_lo, s6, v6
	v_add_co_ci_u32_e64 v7, null, s7, v7, vcc_lo
	s_clause 0x1
	global_load_dwordx2 v[14:15], v[14:15], off
	global_load_dwordx2 v[6:7], v[6:7], off
	v_add_co_u32 v8, vcc_lo, s6, v8
	v_add_co_ci_u32_e64 v9, null, s7, v9, vcc_lo
	v_add_co_u32 v10, vcc_lo, s6, v10
	v_add_co_ci_u32_e64 v11, null, s7, v11, vcc_lo
	s_clause 0x1
	global_load_dwordx2 v[8:9], v[8:9], off
	global_load_dwordx2 v[10:11], v[10:11], off
	s_mov_b32 s6, 0xcccccccd
	s_mov_b32 s7, 0x3feccccc
	s_waitcnt vmcnt(7)
	v_fma_f64 v[20:21], v[12:13], -2.0, v[4:5]
	s_waitcnt vmcnt(6)
	v_fma_f64 v[22:23], v[12:13], -2.0, v[16:17]
	v_add_f64 v[32:33], v[12:13], v[16:17]
	v_add_f64 v[16:17], v[12:13], -v[16:17]
	s_waitcnt vmcnt(5)
	v_add_f64 v[20:21], v[20:21], v[18:19]
	s_waitcnt vmcnt(4)
	v_add_f64 v[28:29], v[12:13], v[2:3]
	;; [unrolled: 2-line block ×3, first 2 shown]
	v_add_f64 v[14:15], v[12:13], v[18:19]
	v_add_f64 v[18:19], v[18:19], -v[12:13]
	v_add_f64 v[22:23], v[22:23], v[2:3]
	v_add_f64 v[2:3], v[2:3], -v[12:13]
	v_ldexp_f64 v[20:21], v[20:21], 18
	s_waitcnt vmcnt(0)
	v_add_f64 v[8:9], v[8:9], v[10:11]
	v_add_f64 v[10:11], v[12:13], v[4:5]
	v_mul_f64 v[34:35], v[28:29], v[28:29]
	v_add_f64 v[4:5], v[12:13], -v[4:5]
	v_mul_f64 v[14:15], v[6:7], v[14:15]
	v_mul_f64 v[6:7], |v[6:7]|, v[18:19]
	v_mul_f64 v[2:3], v[2:3], |v[28:29]|
	v_fma_f64 v[20:21], 0x41100000, v[22:23], v[20:21]
	v_fma_f64 v[10:11], v[8:9], v[10:11], -v[14:15]
	v_fma_f64 v[4:5], |v[8:9]|, v[4:5], -v[6:7]
	v_fma_f64 v[2:3], v[16:17], |v[32:33]|, -v[2:3]
	v_div_scale_f64 v[22:23], null, 0x408f4000, 0x408f4000, v[20:21]
	v_fma_f64 v[4:5], v[4:5], s[6:7], v[10:11]
	v_rcp_f64_e32 v[24:25], v[22:23]
	v_fma_f64 v[26:27], -v[22:23], v[24:25], 1.0
	v_fma_f64 v[24:25], v[24:25], v[26:27], v[24:25]
	v_fma_f64 v[26:27], -v[22:23], v[24:25], 1.0
	v_fma_f64 v[24:25], v[24:25], v[26:27], v[24:25]
	v_div_scale_f64 v[26:27], vcc_lo, v[20:21], 0x408f4000, v[20:21]
	v_mul_f64 v[30:31], v[26:27], v[24:25]
	v_fma_f64 v[22:23], -v[22:23], v[30:31], v[26:27]
	v_fma_f64 v[26:27], v[32:33], v[32:33], -v[34:35]
	v_div_fmas_f64 v[16:17], v[22:23], v[24:25], v[30:31]
	v_fma_f64 v[2:3], v[2:3], s[6:7], v[26:27]
	v_div_fixup_f64 v[6:7], v[16:17], 0x408f4000, v[20:21]
	v_fma_f64 v[2:3], 0xc0600000, v[2:3], v[6:7]
                                        ; implicit-def: $vgpr6
	v_fma_f64 v[2:3], 0xc0600000, v[4:5], v[2:3]
	v_add_f64 v[2:3], v[2:3], 0
	v_fma_f64 v[4:5], s[4:5], v[2:3], v[12:13]
                                        ; implicit-def: $vgpr2
.LBB2_2:
	s_andn2_saveexec_b32 s4, s8
	s_cbranch_execz .LBB2_4
; %bb.3:
	v_add_nc_u32_e32 v0, 0x402, v6
	v_ashrrev_i32_e32 v3, 31, v2
	v_ashrrev_i32_e32 v1, 31, v0
	v_lshlrev_b64 v[2:3], 3, v[2:3]
	v_lshlrev_b64 v[4:5], 3, v[0:1]
	v_add_co_u32 v6, vcc_lo, s0, v2
	v_add_co_ci_u32_e64 v7, null, s1, v3, vcc_lo
	v_add_co_u32 v4, vcc_lo, s0, v4
	v_add_co_ci_u32_e64 v5, null, s1, v5, vcc_lo
	v_add_co_u32 v2, vcc_lo, s2, v2
	s_clause 0x1
	global_load_dwordx2 v[6:7], v[6:7], off
	global_load_dwordx2 v[4:5], v[4:5], off
	v_add_co_ci_u32_e64 v3, null, s3, v3, vcc_lo
	s_waitcnt vmcnt(1)
	global_store_dwordx2 v[2:3], v[6:7], off
.LBB2_4:
	s_or_b32 exec_lo, exec_lo, s4
	v_lshlrev_b64 v[0:1], 3, v[0:1]
	v_add_co_u32 v0, vcc_lo, s2, v0
	v_add_co_ci_u32_e64 v1, null, s3, v1, vcc_lo
	s_waitcnt vmcnt(0)
	global_store_dwordx2 v[0:1], v[4:5], off
	s_endpgm
	.section	.rodata,"a",@progbits
	.p2align	6, 0x0
	.amdhsa_kernel _Z11calculate_GdPKdS0_Pd
		.amdhsa_group_segment_fixed_size 0
		.amdhsa_private_segment_fixed_size 0
		.amdhsa_kernarg_size 288
		.amdhsa_user_sgpr_count 6
		.amdhsa_user_sgpr_private_segment_buffer 1
		.amdhsa_user_sgpr_dispatch_ptr 0
		.amdhsa_user_sgpr_queue_ptr 0
		.amdhsa_user_sgpr_kernarg_segment_ptr 1
		.amdhsa_user_sgpr_dispatch_id 0
		.amdhsa_user_sgpr_flat_scratch_init 0
		.amdhsa_user_sgpr_private_segment_size 0
		.amdhsa_wavefront_size32 1
		.amdhsa_uses_dynamic_stack 0
		.amdhsa_system_sgpr_private_segment_wavefront_offset 0
		.amdhsa_system_sgpr_workgroup_id_x 1
		.amdhsa_system_sgpr_workgroup_id_y 1
		.amdhsa_system_sgpr_workgroup_id_z 0
		.amdhsa_system_sgpr_workgroup_info 0
		.amdhsa_system_vgpr_workitem_id 1
		.amdhsa_next_free_vgpr 36
		.amdhsa_next_free_sgpr 10
		.amdhsa_reserve_vcc 1
		.amdhsa_reserve_flat_scratch 0
		.amdhsa_float_round_mode_32 0
		.amdhsa_float_round_mode_16_64 0
		.amdhsa_float_denorm_mode_32 3
		.amdhsa_float_denorm_mode_16_64 3
		.amdhsa_dx10_clamp 1
		.amdhsa_ieee_mode 1
		.amdhsa_fp16_overflow 0
		.amdhsa_workgroup_processor_mode 1
		.amdhsa_memory_ordered 1
		.amdhsa_forward_progress 1
		.amdhsa_shared_vgpr_count 0
		.amdhsa_exception_fp_ieee_invalid_op 0
		.amdhsa_exception_fp_denorm_src 0
		.amdhsa_exception_fp_ieee_div_zero 0
		.amdhsa_exception_fp_ieee_overflow 0
		.amdhsa_exception_fp_ieee_underflow 0
		.amdhsa_exception_fp_ieee_inexact 0
		.amdhsa_exception_int_div_zero 0
	.end_amdhsa_kernel
	.text
.Lfunc_end2:
	.size	_Z11calculate_GdPKdS0_Pd, .Lfunc_end2-_Z11calculate_GdPKdS0_Pd
                                        ; -- End function
	.set _Z11calculate_GdPKdS0_Pd.num_vgpr, 36
	.set _Z11calculate_GdPKdS0_Pd.num_agpr, 0
	.set _Z11calculate_GdPKdS0_Pd.numbered_sgpr, 10
	.set _Z11calculate_GdPKdS0_Pd.num_named_barrier, 0
	.set _Z11calculate_GdPKdS0_Pd.private_seg_size, 0
	.set _Z11calculate_GdPKdS0_Pd.uses_vcc, 1
	.set _Z11calculate_GdPKdS0_Pd.uses_flat_scratch, 0
	.set _Z11calculate_GdPKdS0_Pd.has_dyn_sized_stack, 0
	.set _Z11calculate_GdPKdS0_Pd.has_recursion, 0
	.set _Z11calculate_GdPKdS0_Pd.has_indirect_call, 0
	.section	.AMDGPU.csdata,"",@progbits
; Kernel info:
; codeLenInByte = 1000
; TotalNumSgprs: 12
; NumVgprs: 36
; ScratchSize: 0
; MemoryBound: 0
; FloatMode: 240
; IeeeMode: 1
; LDSByteSize: 0 bytes/workgroup (compile time only)
; SGPRBlocks: 0
; VGPRBlocks: 4
; NumSGPRsForWavesPerEU: 12
; NumVGPRsForWavesPerEU: 36
; Occupancy: 16
; WaveLimiterHint : 0
; COMPUTE_PGM_RSRC2:SCRATCH_EN: 0
; COMPUTE_PGM_RSRC2:USER_SGPR: 6
; COMPUTE_PGM_RSRC2:TRAP_HANDLER: 0
; COMPUTE_PGM_RSRC2:TGID_X_EN: 1
; COMPUTE_PGM_RSRC2:TGID_Y_EN: 1
; COMPUTE_PGM_RSRC2:TGID_Z_EN: 0
; COMPUTE_PGM_RSRC2:TIDIG_COMP_CNT: 1
	.text
	.protected	_Z12sum_pressurePKdS0_Pd ; -- Begin function _Z12sum_pressurePKdS0_Pd
	.globl	_Z12sum_pressurePKdS0_Pd
	.p2align	8
	.type	_Z12sum_pressurePKdS0_Pd,@function
_Z12sum_pressurePKdS0_Pd:               ; @_Z12sum_pressurePKdS0_Pd
; %bb.0:
	s_clause 0x1
	s_load_dword s0, s[4:5], 0x24
	s_load_dwordx4 s[8:11], s[4:5], 0x0
	s_waitcnt lgkmcnt(0)
	s_lshr_b32 s1, s0, 16
	s_and_b32 s0, s0, 0xffff
	v_mad_u64_u32 v[1:2], null, s7, s1, v[1:2]
	s_mov_b32 s1, exec_lo
	v_mad_u64_u32 v[2:3], null, s6, s0, v[0:1]
	v_mul_lo_u32 v1, 0x102, v1
	s_load_dword s0, s[4:5], 0x1c
	v_add3_u32 v1, v2, v1, 0x103
	v_ashrrev_i32_e32 v2, 31, v1
	v_lshlrev_b64 v[1:2], 3, v[1:2]
	v_add_co_u32 v3, vcc_lo, s10, v1
	v_add_co_ci_u32_e64 v4, null, s11, v2, vcc_lo
	v_add_co_u32 v1, vcc_lo, s8, v1
	v_add_co_ci_u32_e64 v2, null, s9, v2, vcc_lo
	global_load_dwordx2 v[3:4], v[3:4], off
	global_load_dwordx2 v[1:2], v[1:2], off
	s_waitcnt vmcnt(1)
	v_mul_f64 v[3:4], v[3:4], v[3:4]
	s_waitcnt vmcnt(0)
	v_fma_f64 v[2:3], v[1:2], v[1:2], v[3:4]
	v_lshlrev_b32_e32 v1, 3, v0
	ds_write_b64 v1, v[2:3]
	s_waitcnt lgkmcnt(0)
	s_barrier
	buffer_gl0_inv
	v_cmpx_gt_u32_e32 64, v0
	s_cbranch_execz .LBB3_2
; %bb.1:
	ds_read2st64_b64 v[2:5], v1 offset1:1
	s_waitcnt lgkmcnt(0)
	v_add_f64 v[2:3], v[4:5], v[2:3]
	ds_write_b64 v1, v[2:3]
.LBB3_2:
	s_or_b32 exec_lo, exec_lo, s1
	s_mov_b32 s1, exec_lo
	s_waitcnt lgkmcnt(0)
	s_barrier
	buffer_gl0_inv
	v_cmpx_gt_u32_e32 32, v0
	s_cbranch_execz .LBB3_4
; %bb.3:
	ds_read2_b64 v[2:5], v1 offset1:32
	s_waitcnt lgkmcnt(0)
	v_add_f64 v[2:3], v[4:5], v[2:3]
	ds_write_b64 v1, v[2:3]
.LBB3_4:
	s_or_b32 exec_lo, exec_lo, s1
	s_mov_b32 s1, exec_lo
	s_waitcnt lgkmcnt(0)
	s_barrier
	buffer_gl0_inv
	v_cmpx_gt_u32_e32 16, v0
	s_cbranch_execz .LBB3_6
; %bb.5:
	ds_read2_b64 v[2:5], v1 offset1:16
	s_waitcnt lgkmcnt(0)
	v_add_f64 v[2:3], v[4:5], v[2:3]
	ds_write_b64 v1, v[2:3]
.LBB3_6:
	;; [unrolled: 13-line block ×5, first 2 shown]
	s_or_b32 exec_lo, exec_lo, s1
	v_cmp_eq_u32_e32 vcc_lo, 0, v0
	s_waitcnt lgkmcnt(0)
	s_barrier
	buffer_gl0_inv
	s_and_saveexec_b32 s1, vcc_lo
	s_cbranch_execz .LBB3_14
; %bb.13:
	ds_read2_b64 v[2:5], v1 offset1:1
	s_waitcnt lgkmcnt(0)
	v_add_f64 v[2:3], v[4:5], v[2:3]
	ds_write_b64 v1, v[2:3]
.LBB3_14:
	s_or_b32 exec_lo, exec_lo, s1
	s_waitcnt lgkmcnt(0)
	s_barrier
	buffer_gl0_inv
	s_and_saveexec_b32 s1, vcc_lo
	s_cbranch_execz .LBB3_16
; %bb.15:
	v_mov_b32_e32 v2, 0
	s_load_dwordx2 s[2:3], s[4:5], 0x10
	s_mul_i32 s0, s0, s6
	s_mov_b32 s1, 0
	s_add_i32 s0, s0, s7
	ds_read_b64 v[0:1], v2
	s_lshl_b64 s[0:1], s[0:1], 3
	s_waitcnt lgkmcnt(0)
	s_add_u32 s0, s2, s0
	s_addc_u32 s1, s3, s1
	global_store_dwordx2 v2, v[0:1], s[0:1]
.LBB3_16:
	s_endpgm
	.section	.rodata,"a",@progbits
	.p2align	6, 0x0
	.amdhsa_kernel _Z12sum_pressurePKdS0_Pd
		.amdhsa_group_segment_fixed_size 1024
		.amdhsa_private_segment_fixed_size 0
		.amdhsa_kernarg_size 280
		.amdhsa_user_sgpr_count 6
		.amdhsa_user_sgpr_private_segment_buffer 1
		.amdhsa_user_sgpr_dispatch_ptr 0
		.amdhsa_user_sgpr_queue_ptr 0
		.amdhsa_user_sgpr_kernarg_segment_ptr 1
		.amdhsa_user_sgpr_dispatch_id 0
		.amdhsa_user_sgpr_flat_scratch_init 0
		.amdhsa_user_sgpr_private_segment_size 0
		.amdhsa_wavefront_size32 1
		.amdhsa_uses_dynamic_stack 0
		.amdhsa_system_sgpr_private_segment_wavefront_offset 0
		.amdhsa_system_sgpr_workgroup_id_x 1
		.amdhsa_system_sgpr_workgroup_id_y 1
		.amdhsa_system_sgpr_workgroup_id_z 0
		.amdhsa_system_sgpr_workgroup_info 0
		.amdhsa_system_vgpr_workitem_id 1
		.amdhsa_next_free_vgpr 6
		.amdhsa_next_free_sgpr 12
		.amdhsa_reserve_vcc 1
		.amdhsa_reserve_flat_scratch 0
		.amdhsa_float_round_mode_32 0
		.amdhsa_float_round_mode_16_64 0
		.amdhsa_float_denorm_mode_32 3
		.amdhsa_float_denorm_mode_16_64 3
		.amdhsa_dx10_clamp 1
		.amdhsa_ieee_mode 1
		.amdhsa_fp16_overflow 0
		.amdhsa_workgroup_processor_mode 1
		.amdhsa_memory_ordered 1
		.amdhsa_forward_progress 1
		.amdhsa_shared_vgpr_count 0
		.amdhsa_exception_fp_ieee_invalid_op 0
		.amdhsa_exception_fp_denorm_src 0
		.amdhsa_exception_fp_ieee_div_zero 0
		.amdhsa_exception_fp_ieee_overflow 0
		.amdhsa_exception_fp_ieee_underflow 0
		.amdhsa_exception_fp_ieee_inexact 0
		.amdhsa_exception_int_div_zero 0
	.end_amdhsa_kernel
	.text
.Lfunc_end3:
	.size	_Z12sum_pressurePKdS0_Pd, .Lfunc_end3-_Z12sum_pressurePKdS0_Pd
                                        ; -- End function
	.set _Z12sum_pressurePKdS0_Pd.num_vgpr, 6
	.set _Z12sum_pressurePKdS0_Pd.num_agpr, 0
	.set _Z12sum_pressurePKdS0_Pd.numbered_sgpr, 12
	.set _Z12sum_pressurePKdS0_Pd.num_named_barrier, 0
	.set _Z12sum_pressurePKdS0_Pd.private_seg_size, 0
	.set _Z12sum_pressurePKdS0_Pd.uses_vcc, 1
	.set _Z12sum_pressurePKdS0_Pd.uses_flat_scratch, 0
	.set _Z12sum_pressurePKdS0_Pd.has_dyn_sized_stack, 0
	.set _Z12sum_pressurePKdS0_Pd.has_recursion, 0
	.set _Z12sum_pressurePKdS0_Pd.has_indirect_call, 0
	.section	.AMDGPU.csdata,"",@progbits
; Kernel info:
; codeLenInByte = 684
; TotalNumSgprs: 14
; NumVgprs: 6
; ScratchSize: 0
; MemoryBound: 0
; FloatMode: 240
; IeeeMode: 1
; LDSByteSize: 1024 bytes/workgroup (compile time only)
; SGPRBlocks: 0
; VGPRBlocks: 0
; NumSGPRsForWavesPerEU: 14
; NumVGPRsForWavesPerEU: 6
; Occupancy: 16
; WaveLimiterHint : 0
; COMPUTE_PGM_RSRC2:SCRATCH_EN: 0
; COMPUTE_PGM_RSRC2:USER_SGPR: 6
; COMPUTE_PGM_RSRC2:TRAP_HANDLER: 0
; COMPUTE_PGM_RSRC2:TGID_X_EN: 1
; COMPUTE_PGM_RSRC2:TGID_Y_EN: 1
; COMPUTE_PGM_RSRC2:TGID_Z_EN: 0
; COMPUTE_PGM_RSRC2:TIDIG_COMP_CNT: 1
	.text
	.protected	_Z17set_horz_pres_BCsPdS_ ; -- Begin function _Z17set_horz_pres_BCsPdS_
	.globl	_Z17set_horz_pres_BCsPdS_
	.p2align	8
	.type	_Z17set_horz_pres_BCsPdS_,@function
_Z17set_horz_pres_BCsPdS_:              ; @_Z17set_horz_pres_BCsPdS_
; %bb.0:
	s_load_dword s0, s[4:5], 0x1c
	s_waitcnt lgkmcnt(0)
	s_and_b32 s0, s0, 0xffff
	v_mad_u64_u32 v[0:1], null, s6, s0, v[0:1]
	s_load_dwordx4 s[0:3], s[4:5], 0x0
	v_mul_lo_u32 v9, 0x204, v0
	v_add_nc_u32_e32 v0, 0x103, v9
	v_add_nc_u32_e32 v2, 0x205, v9
	;; [unrolled: 1-line block ×5, first 2 shown]
	v_ashrrev_i32_e32 v1, 31, v0
	v_ashrrev_i32_e32 v3, 31, v2
	;; [unrolled: 1-line block ×4, first 2 shown]
	v_add_nc_u32_e32 v10, 0x204, v9
	v_lshlrev_b64 v[0:1], 3, v[0:1]
	v_lshlrev_b64 v[2:3], 3, v[2:3]
	;; [unrolled: 1-line block ×4, first 2 shown]
	v_add_nc_u32_e32 v12, 0x203, v9
	v_add_nc_u32_e32 v14, 0x305, v9
	s_waitcnt lgkmcnt(0)
	v_add_co_u32 v0, vcc_lo, s0, v0
	v_add_co_ci_u32_e64 v1, null, s1, v1, vcc_lo
	v_add_co_u32 v2, vcc_lo, s2, v2
	v_add_co_ci_u32_e64 v3, null, s3, v3, vcc_lo
	;; [unrolled: 2-line block ×4, first 2 shown]
	global_load_dwordx2 v[0:1], v[0:1], off
	s_clause 0x1
	global_load_dwordx2 v[2:3], v[2:3], off
	global_load_dwordx2 v[4:5], v[4:5], off
	;; [unrolled: 1-line block ×3, first 2 shown]
	v_ashrrev_i32_e32 v9, 31, v8
	v_ashrrev_i32_e32 v11, 31, v10
	;; [unrolled: 1-line block ×4, first 2 shown]
	v_lshlrev_b64 v[8:9], 3, v[8:9]
	v_lshlrev_b64 v[10:11], 3, v[10:11]
	;; [unrolled: 1-line block ×4, first 2 shown]
	v_add_co_u32 v8, vcc_lo, s2, v8
	v_add_co_ci_u32_e64 v9, null, s3, v9, vcc_lo
	v_add_co_u32 v10, vcc_lo, s0, v10
	v_add_co_ci_u32_e64 v11, null, s1, v11, vcc_lo
	;; [unrolled: 2-line block ×4, first 2 shown]
	s_waitcnt vmcnt(3)
	global_store_dwordx2 v[8:9], v[0:1], off
	s_waitcnt vmcnt(2)
	global_store_dwordx2 v[10:11], v[2:3], off
	;; [unrolled: 2-line block ×4, first 2 shown]
	s_endpgm
	.section	.rodata,"a",@progbits
	.p2align	6, 0x0
	.amdhsa_kernel _Z17set_horz_pres_BCsPdS_
		.amdhsa_group_segment_fixed_size 0
		.amdhsa_private_segment_fixed_size 0
		.amdhsa_kernarg_size 272
		.amdhsa_user_sgpr_count 6
		.amdhsa_user_sgpr_private_segment_buffer 1
		.amdhsa_user_sgpr_dispatch_ptr 0
		.amdhsa_user_sgpr_queue_ptr 0
		.amdhsa_user_sgpr_kernarg_segment_ptr 1
		.amdhsa_user_sgpr_dispatch_id 0
		.amdhsa_user_sgpr_flat_scratch_init 0
		.amdhsa_user_sgpr_private_segment_size 0
		.amdhsa_wavefront_size32 1
		.amdhsa_uses_dynamic_stack 0
		.amdhsa_system_sgpr_private_segment_wavefront_offset 0
		.amdhsa_system_sgpr_workgroup_id_x 1
		.amdhsa_system_sgpr_workgroup_id_y 0
		.amdhsa_system_sgpr_workgroup_id_z 0
		.amdhsa_system_sgpr_workgroup_info 0
		.amdhsa_system_vgpr_workitem_id 0
		.amdhsa_next_free_vgpr 16
		.amdhsa_next_free_sgpr 7
		.amdhsa_reserve_vcc 1
		.amdhsa_reserve_flat_scratch 0
		.amdhsa_float_round_mode_32 0
		.amdhsa_float_round_mode_16_64 0
		.amdhsa_float_denorm_mode_32 3
		.amdhsa_float_denorm_mode_16_64 3
		.amdhsa_dx10_clamp 1
		.amdhsa_ieee_mode 1
		.amdhsa_fp16_overflow 0
		.amdhsa_workgroup_processor_mode 1
		.amdhsa_memory_ordered 1
		.amdhsa_forward_progress 1
		.amdhsa_shared_vgpr_count 0
		.amdhsa_exception_fp_ieee_invalid_op 0
		.amdhsa_exception_fp_denorm_src 0
		.amdhsa_exception_fp_ieee_div_zero 0
		.amdhsa_exception_fp_ieee_overflow 0
		.amdhsa_exception_fp_ieee_underflow 0
		.amdhsa_exception_fp_ieee_inexact 0
		.amdhsa_exception_int_div_zero 0
	.end_amdhsa_kernel
	.text
.Lfunc_end4:
	.size	_Z17set_horz_pres_BCsPdS_, .Lfunc_end4-_Z17set_horz_pres_BCsPdS_
                                        ; -- End function
	.set _Z17set_horz_pres_BCsPdS_.num_vgpr, 16
	.set _Z17set_horz_pres_BCsPdS_.num_agpr, 0
	.set _Z17set_horz_pres_BCsPdS_.numbered_sgpr, 7
	.set _Z17set_horz_pres_BCsPdS_.num_named_barrier, 0
	.set _Z17set_horz_pres_BCsPdS_.private_seg_size, 0
	.set _Z17set_horz_pres_BCsPdS_.uses_vcc, 1
	.set _Z17set_horz_pres_BCsPdS_.uses_flat_scratch, 0
	.set _Z17set_horz_pres_BCsPdS_.has_dyn_sized_stack, 0
	.set _Z17set_horz_pres_BCsPdS_.has_recursion, 0
	.set _Z17set_horz_pres_BCsPdS_.has_indirect_call, 0
	.section	.AMDGPU.csdata,"",@progbits
; Kernel info:
; codeLenInByte = 428
; TotalNumSgprs: 9
; NumVgprs: 16
; ScratchSize: 0
; MemoryBound: 0
; FloatMode: 240
; IeeeMode: 1
; LDSByteSize: 0 bytes/workgroup (compile time only)
; SGPRBlocks: 0
; VGPRBlocks: 1
; NumSGPRsForWavesPerEU: 9
; NumVGPRsForWavesPerEU: 16
; Occupancy: 16
; WaveLimiterHint : 0
; COMPUTE_PGM_RSRC2:SCRATCH_EN: 0
; COMPUTE_PGM_RSRC2:USER_SGPR: 6
; COMPUTE_PGM_RSRC2:TRAP_HANDLER: 0
; COMPUTE_PGM_RSRC2:TGID_X_EN: 1
; COMPUTE_PGM_RSRC2:TGID_Y_EN: 0
; COMPUTE_PGM_RSRC2:TGID_Z_EN: 0
; COMPUTE_PGM_RSRC2:TIDIG_COMP_CNT: 0
	.text
	.protected	_Z17set_vert_pres_BCsPdS_ ; -- Begin function _Z17set_vert_pres_BCsPdS_
	.globl	_Z17set_vert_pres_BCsPdS_
	.p2align	8
	.type	_Z17set_vert_pres_BCsPdS_,@function
_Z17set_vert_pres_BCsPdS_:              ; @_Z17set_vert_pres_BCsPdS_
; %bb.0:
	s_load_dword s0, s[4:5], 0x1c
	s_waitcnt lgkmcnt(0)
	s_and_b32 s0, s0, 0xffff
	v_mad_u64_u32 v[0:1], null, s6, s0, v[0:1]
	s_load_dwordx4 s[0:3], s[4:5], 0x0
	v_add_nc_u32_e32 v1, 0x103, v0
	v_add_nc_u32_e32 v3, 0x20401, v0
	;; [unrolled: 1-line block ×3, first 2 shown]
	v_ashrrev_i32_e32 v2, 31, v1
	v_ashrrev_i32_e32 v4, 31, v3
	;; [unrolled: 1-line block ×3, first 2 shown]
	v_lshlrev_b64 v[1:2], 3, v[1:2]
	v_lshlrev_b64 v[3:4], 3, v[3:4]
	v_lshlrev_b64 v[11:12], 3, v[11:12]
	s_waitcnt lgkmcnt(0)
	v_add_co_u32 v5, vcc_lo, s0, v1
	v_add_co_ci_u32_e64 v6, null, s1, v2, vcc_lo
	v_add_co_u32 v1, vcc_lo, s2, v1
	v_add_co_ci_u32_e64 v2, null, s3, v2, vcc_lo
	v_add_co_u32 v7, vcc_lo, s0, v3
	v_add_co_ci_u32_e64 v8, null, s1, v4, vcc_lo
	v_add_co_u32 v3, vcc_lo, s2, v3
	v_add_co_ci_u32_e64 v4, null, s3, v4, vcc_lo
	global_load_dwordx2 v[5:6], v[5:6], off
	global_load_dwordx2 v[9:10], v[1:2], off
	;; [unrolled: 1-line block ×4, first 2 shown]
	v_ashrrev_i32_e32 v1, 31, v0
	v_lshlrev_b64 v[0:1], 3, v[0:1]
	v_add_co_u32 v13, vcc_lo, s2, v0
	v_add_co_ci_u32_e64 v14, null, s3, v1, vcc_lo
	v_add_co_u32 v0, vcc_lo, s0, v0
	v_add_co_ci_u32_e64 v1, null, s1, v1, vcc_lo
	;; [unrolled: 2-line block ×4, first 2 shown]
	s_waitcnt vmcnt(3)
	global_store_dwordx2 v[13:14], v[5:6], off offset:8
	s_waitcnt vmcnt(2)
	global_store_dwordx2 v[0:1], v[9:10], off offset:8
	s_waitcnt vmcnt(1)
	global_store_dwordx2 v[15:16], v[7:8], off
	s_waitcnt vmcnt(0)
	global_store_dwordx2 v[11:12], v[2:3], off
	s_endpgm
	.section	.rodata,"a",@progbits
	.p2align	6, 0x0
	.amdhsa_kernel _Z17set_vert_pres_BCsPdS_
		.amdhsa_group_segment_fixed_size 0
		.amdhsa_private_segment_fixed_size 0
		.amdhsa_kernarg_size 272
		.amdhsa_user_sgpr_count 6
		.amdhsa_user_sgpr_private_segment_buffer 1
		.amdhsa_user_sgpr_dispatch_ptr 0
		.amdhsa_user_sgpr_queue_ptr 0
		.amdhsa_user_sgpr_kernarg_segment_ptr 1
		.amdhsa_user_sgpr_dispatch_id 0
		.amdhsa_user_sgpr_flat_scratch_init 0
		.amdhsa_user_sgpr_private_segment_size 0
		.amdhsa_wavefront_size32 1
		.amdhsa_uses_dynamic_stack 0
		.amdhsa_system_sgpr_private_segment_wavefront_offset 0
		.amdhsa_system_sgpr_workgroup_id_x 1
		.amdhsa_system_sgpr_workgroup_id_y 0
		.amdhsa_system_sgpr_workgroup_id_z 0
		.amdhsa_system_sgpr_workgroup_info 0
		.amdhsa_system_vgpr_workitem_id 0
		.amdhsa_next_free_vgpr 17
		.amdhsa_next_free_sgpr 7
		.amdhsa_reserve_vcc 1
		.amdhsa_reserve_flat_scratch 0
		.amdhsa_float_round_mode_32 0
		.amdhsa_float_round_mode_16_64 0
		.amdhsa_float_denorm_mode_32 3
		.amdhsa_float_denorm_mode_16_64 3
		.amdhsa_dx10_clamp 1
		.amdhsa_ieee_mode 1
		.amdhsa_fp16_overflow 0
		.amdhsa_workgroup_processor_mode 1
		.amdhsa_memory_ordered 1
		.amdhsa_forward_progress 1
		.amdhsa_shared_vgpr_count 0
		.amdhsa_exception_fp_ieee_invalid_op 0
		.amdhsa_exception_fp_denorm_src 0
		.amdhsa_exception_fp_ieee_div_zero 0
		.amdhsa_exception_fp_ieee_overflow 0
		.amdhsa_exception_fp_ieee_underflow 0
		.amdhsa_exception_fp_ieee_inexact 0
		.amdhsa_exception_int_div_zero 0
	.end_amdhsa_kernel
	.text
.Lfunc_end5:
	.size	_Z17set_vert_pres_BCsPdS_, .Lfunc_end5-_Z17set_vert_pres_BCsPdS_
                                        ; -- End function
	.set _Z17set_vert_pres_BCsPdS_.num_vgpr, 17
	.set _Z17set_vert_pres_BCsPdS_.num_agpr, 0
	.set _Z17set_vert_pres_BCsPdS_.numbered_sgpr, 7
	.set _Z17set_vert_pres_BCsPdS_.num_named_barrier, 0
	.set _Z17set_vert_pres_BCsPdS_.private_seg_size, 0
	.set _Z17set_vert_pres_BCsPdS_.uses_vcc, 1
	.set _Z17set_vert_pres_BCsPdS_.uses_flat_scratch, 0
	.set _Z17set_vert_pres_BCsPdS_.has_dyn_sized_stack, 0
	.set _Z17set_vert_pres_BCsPdS_.has_recursion, 0
	.set _Z17set_vert_pres_BCsPdS_.has_indirect_call, 0
	.section	.AMDGPU.csdata,"",@progbits
; Kernel info:
; codeLenInByte = 324
; TotalNumSgprs: 9
; NumVgprs: 17
; ScratchSize: 0
; MemoryBound: 1
; FloatMode: 240
; IeeeMode: 1
; LDSByteSize: 0 bytes/workgroup (compile time only)
; SGPRBlocks: 0
; VGPRBlocks: 2
; NumSGPRsForWavesPerEU: 9
; NumVGPRsForWavesPerEU: 17
; Occupancy: 16
; WaveLimiterHint : 1
; COMPUTE_PGM_RSRC2:SCRATCH_EN: 0
; COMPUTE_PGM_RSRC2:USER_SGPR: 6
; COMPUTE_PGM_RSRC2:TRAP_HANDLER: 0
; COMPUTE_PGM_RSRC2:TGID_X_EN: 1
; COMPUTE_PGM_RSRC2:TGID_Y_EN: 0
; COMPUTE_PGM_RSRC2:TGID_Z_EN: 0
; COMPUTE_PGM_RSRC2:TIDIG_COMP_CNT: 0
	.text
	.protected	_Z10red_kerneldPKdS0_S0_Pd ; -- Begin function _Z10red_kerneldPKdS0_S0_Pd
	.globl	_Z10red_kerneldPKdS0_S0_Pd
	.p2align	8
	.type	_Z10red_kerneldPKdS0_S0_Pd,@function
_Z10red_kerneldPKdS0_S0_Pd:             ; @_Z10red_kerneldPKdS0_S0_Pd
; %bb.0:
	s_clause 0x1
	s_load_dword s0, s[4:5], 0x34
	s_load_dwordx8 s[8:15], s[4:5], 0x0
	s_mov_b32 s2, 0x33333333
	s_mov_b32 s3, 0x3ffb3333
	s_waitcnt lgkmcnt(0)
	s_lshr_b32 s1, s0, 16
	s_and_b32 s0, s0, 0xffff
	v_mad_u64_u32 v[1:2], null, s7, s1, v[1:2]
	s_mul_i32 s6, s6, s0
	s_load_dwordx2 s[0:1], s[4:5], 0x20
	v_add3_u32 v0, v0, s6, 1
	v_add_nc_u32_e32 v2, 1, v1
	v_lshlrev_b32_e32 v3, 1, v0
	v_mad_u64_u32 v[11:12], null, 0x102, v1, v[0:1]
	v_and_b32_e32 v13, 1, v2
	v_add_nc_u32_e32 v0, 0x102, v11
	v_sub_nc_u32_e32 v2, v3, v13
	v_add_nc_u32_e32 v16, 0x204, v11
	v_sub_nc_u32_e32 v12, v0, v13
	v_mad_u64_u32 v[2:3], null, 0x202, v1, v[2:3]
	v_and_b32_e32 v1, 1, v1
	v_ashrrev_i32_e32 v17, 31, v16
	v_ashrrev_i32_e32 v13, 31, v12
	v_add_nc_u32_e32 v14, v0, v1
	v_add_nc_u32_e32 v3, 0x202, v2
	;; [unrolled: 1-line block ×3, first 2 shown]
	v_lshlrev_b64 v[12:13], 3, v[12:13]
	v_ashrrev_i32_e32 v1, 31, v0
	v_ashrrev_i32_e32 v15, 31, v14
	v_ashrrev_i32_e32 v4, 31, v3
	v_ashrrev_i32_e32 v6, 31, v5
	v_lshlrev_b64 v[0:1], 3, v[0:1]
	v_lshlrev_b64 v[14:15], 3, v[14:15]
	v_lshlrev_b64 v[7:8], 3, v[3:4]
	v_lshlrev_b64 v[3:4], 3, v[5:6]
	v_add_co_u32 v5, vcc_lo, s12, v7
	v_add_co_ci_u32_e64 v6, null, s13, v8, vcc_lo
	v_add_co_u32 v3, vcc_lo, s12, v3
	v_add_co_ci_u32_e64 v4, null, s13, v4, vcc_lo
	s_clause 0x1
	global_load_dwordx2 v[5:6], v[5:6], off
	global_load_dwordx2 v[9:10], v[3:4], off
	v_ashrrev_i32_e32 v3, 31, v2
	v_add_co_u32 v7, vcc_lo, s10, v7
	v_add_co_ci_u32_e64 v8, null, s11, v8, vcc_lo
	v_lshlrev_b64 v[2:3], 3, v[2:3]
	v_add_co_u32 v2, vcc_lo, s10, v2
	v_add_co_ci_u32_e64 v3, null, s11, v3, vcc_lo
	s_clause 0x1
	global_load_dwordx2 v[7:8], v[7:8], off
	global_load_dwordx2 v[2:3], v[2:3], off
	v_add_co_u32 v18, vcc_lo, s14, v12
	v_add_co_ci_u32_e64 v19, null, s15, v13, vcc_lo
	v_add_co_u32 v13, vcc_lo, s14, v14
	v_add_co_ci_u32_e64 v14, null, s15, v15, vcc_lo
	s_clause 0x1
	global_load_dwordx2 v[18:19], v[18:19], off
	global_load_dwordx2 v[13:14], v[13:14], off
	v_ashrrev_i32_e32 v12, 31, v11
	v_lshlrev_b64 v[15:16], 3, v[16:17]
	v_lshlrev_b64 v[11:12], 3, v[11:12]
	v_add_co_u32 v11, vcc_lo, s14, v11
	v_add_co_ci_u32_e64 v12, null, s15, v12, vcc_lo
	v_add_co_u32 v15, vcc_lo, s14, v15
	v_add_co_ci_u32_e64 v16, null, s15, v16, vcc_lo
	s_clause 0x1
	global_load_dwordx2 v[11:12], v[11:12], off
	global_load_dwordx2 v[15:16], v[15:16], off
	s_waitcnt lgkmcnt(0)
	v_add_co_u32 v0, vcc_lo, s0, v0
	v_add_co_ci_u32_e64 v1, null, s1, v1, vcc_lo
	s_mov_b32 s0, 0x66666666
	s_mov_b32 s1, 0xbfe66666
	global_load_dwordx2 v[20:21], v[0:1], off
	s_waitcnt vmcnt(7)
	v_add_f64 v[4:5], v[5:6], -v[9:10]
	s_waitcnt vmcnt(5)
	v_add_f64 v[2:3], v[7:8], -v[2:3]
	v_ldexp_f64 v[4:5], v[4:5], 9
	s_waitcnt vmcnt(3)
	v_add_f64 v[13:14], v[18:19], v[13:14]
	v_fma_f64 v[2:3], 0x40800000, v[2:3], v[4:5]
	s_waitcnt vmcnt(1)
	v_add_f64 v[10:11], v[11:12], v[15:16]
	v_div_scale_f64 v[4:5], null, s[8:9], s[8:9], v[2:3]
	v_div_scale_f64 v[22:23], vcc_lo, v[2:3], s[8:9], v[2:3]
	v_rcp_f64_e32 v[6:7], v[4:5]
	v_fma_f64 v[8:9], -v[4:5], v[6:7], 1.0
	v_fma_f64 v[6:7], v[6:7], v[8:9], v[6:7]
	v_fma_f64 v[8:9], -v[4:5], v[6:7], 1.0
	v_fma_f64 v[6:7], v[6:7], v[8:9], v[6:7]
	v_mul_f64 v[8:9], v[22:23], v[6:7]
	v_fma_f64 v[4:5], -v[4:5], v[8:9], v[22:23]
	v_div_fmas_f64 v[4:5], v[4:5], v[6:7], v[8:9]
	v_ldexp_f64 v[6:7], v[13:14], 18
	v_div_fixup_f64 v[2:3], v[4:5], s[8:9], v[2:3]
	v_fma_f64 v[4:5], 0x41100000, v[10:11], v[6:7]
	v_add_f64 v[2:3], v[4:5], -v[2:3]
	s_waitcnt vmcnt(0)
	v_mul_f64 v[4:5], v[20:21], s[0:1]
	v_mul_f64 v[2:3], v[2:3], s[2:3]
	v_fma_f64 v[2:3], 0x3eb00000, v[2:3], v[4:5]
	global_store_dwordx2 v[0:1], v[2:3], off
	s_endpgm
	.section	.rodata,"a",@progbits
	.p2align	6, 0x0
	.amdhsa_kernel _Z10red_kerneldPKdS0_S0_Pd
		.amdhsa_group_segment_fixed_size 0
		.amdhsa_private_segment_fixed_size 0
		.amdhsa_kernarg_size 296
		.amdhsa_user_sgpr_count 6
		.amdhsa_user_sgpr_private_segment_buffer 1
		.amdhsa_user_sgpr_dispatch_ptr 0
		.amdhsa_user_sgpr_queue_ptr 0
		.amdhsa_user_sgpr_kernarg_segment_ptr 1
		.amdhsa_user_sgpr_dispatch_id 0
		.amdhsa_user_sgpr_flat_scratch_init 0
		.amdhsa_user_sgpr_private_segment_size 0
		.amdhsa_wavefront_size32 1
		.amdhsa_uses_dynamic_stack 0
		.amdhsa_system_sgpr_private_segment_wavefront_offset 0
		.amdhsa_system_sgpr_workgroup_id_x 1
		.amdhsa_system_sgpr_workgroup_id_y 1
		.amdhsa_system_sgpr_workgroup_id_z 0
		.amdhsa_system_sgpr_workgroup_info 0
		.amdhsa_system_vgpr_workitem_id 1
		.amdhsa_next_free_vgpr 24
		.amdhsa_next_free_sgpr 16
		.amdhsa_reserve_vcc 1
		.amdhsa_reserve_flat_scratch 0
		.amdhsa_float_round_mode_32 0
		.amdhsa_float_round_mode_16_64 0
		.amdhsa_float_denorm_mode_32 3
		.amdhsa_float_denorm_mode_16_64 3
		.amdhsa_dx10_clamp 1
		.amdhsa_ieee_mode 1
		.amdhsa_fp16_overflow 0
		.amdhsa_workgroup_processor_mode 1
		.amdhsa_memory_ordered 1
		.amdhsa_forward_progress 1
		.amdhsa_shared_vgpr_count 0
		.amdhsa_exception_fp_ieee_invalid_op 0
		.amdhsa_exception_fp_denorm_src 0
		.amdhsa_exception_fp_ieee_div_zero 0
		.amdhsa_exception_fp_ieee_overflow 0
		.amdhsa_exception_fp_ieee_underflow 0
		.amdhsa_exception_fp_ieee_inexact 0
		.amdhsa_exception_int_div_zero 0
	.end_amdhsa_kernel
	.text
.Lfunc_end6:
	.size	_Z10red_kerneldPKdS0_S0_Pd, .Lfunc_end6-_Z10red_kerneldPKdS0_S0_Pd
                                        ; -- End function
	.set _Z10red_kerneldPKdS0_S0_Pd.num_vgpr, 24
	.set _Z10red_kerneldPKdS0_S0_Pd.num_agpr, 0
	.set _Z10red_kerneldPKdS0_S0_Pd.numbered_sgpr, 16
	.set _Z10red_kerneldPKdS0_S0_Pd.num_named_barrier, 0
	.set _Z10red_kerneldPKdS0_S0_Pd.private_seg_size, 0
	.set _Z10red_kerneldPKdS0_S0_Pd.uses_vcc, 1
	.set _Z10red_kerneldPKdS0_S0_Pd.uses_flat_scratch, 0
	.set _Z10red_kerneldPKdS0_S0_Pd.has_dyn_sized_stack, 0
	.set _Z10red_kerneldPKdS0_S0_Pd.has_recursion, 0
	.set _Z10red_kerneldPKdS0_S0_Pd.has_indirect_call, 0
	.section	.AMDGPU.csdata,"",@progbits
; Kernel info:
; codeLenInByte = 736
; TotalNumSgprs: 18
; NumVgprs: 24
; ScratchSize: 0
; MemoryBound: 0
; FloatMode: 240
; IeeeMode: 1
; LDSByteSize: 0 bytes/workgroup (compile time only)
; SGPRBlocks: 0
; VGPRBlocks: 2
; NumSGPRsForWavesPerEU: 18
; NumVGPRsForWavesPerEU: 24
; Occupancy: 16
; WaveLimiterHint : 0
; COMPUTE_PGM_RSRC2:SCRATCH_EN: 0
; COMPUTE_PGM_RSRC2:USER_SGPR: 6
; COMPUTE_PGM_RSRC2:TRAP_HANDLER: 0
; COMPUTE_PGM_RSRC2:TGID_X_EN: 1
; COMPUTE_PGM_RSRC2:TGID_Y_EN: 1
; COMPUTE_PGM_RSRC2:TGID_Z_EN: 0
; COMPUTE_PGM_RSRC2:TIDIG_COMP_CNT: 1
	.text
	.protected	_Z12black_kerneldPKdS0_S0_Pd ; -- Begin function _Z12black_kerneldPKdS0_S0_Pd
	.globl	_Z12black_kerneldPKdS0_S0_Pd
	.p2align	8
	.type	_Z12black_kerneldPKdS0_S0_Pd,@function
_Z12black_kerneldPKdS0_S0_Pd:           ; @_Z12black_kerneldPKdS0_S0_Pd
; %bb.0:
	s_clause 0x1
	s_load_dword s0, s[4:5], 0x34
	s_load_dwordx8 s[8:15], s[4:5], 0x0
	s_mov_b32 s2, 0x33333333
	s_mov_b32 s3, 0x3ffb3333
	s_waitcnt lgkmcnt(0)
	s_and_b32 s1, s0, 0xffff
	s_lshr_b32 s0, s0, 16
	s_mul_i32 s6, s6, s1
	v_mad_u64_u32 v[1:2], null, s7, s0, v[1:2]
	v_add3_u32 v0, v0, s6, 1
	s_load_dwordx2 s[0:1], s[4:5], 0x20
	v_lshlrev_b32_e32 v2, 1, v0
	v_and_b32_e32 v13, 1, v1
	v_mad_u64_u32 v[11:12], null, 0x102, v1, v[0:1]
	v_sub_nc_u32_e32 v2, v2, v13
	v_add_nc_u32_e32 v0, 0x102, v11
	v_mad_u64_u32 v[2:3], null, 0x202, v1, v[2:3]
	v_add_nc_u32_e32 v1, 1, v1
	v_add_nc_u32_e32 v16, 0x204, v11
	v_sub_nc_u32_e32 v12, v0, v13
	v_and_b32_e32 v1, 1, v1
	v_add_nc_u32_e32 v3, 0x202, v2
	v_add_nc_u32_e32 v5, 0x201, v2
	v_ashrrev_i32_e32 v13, 31, v12
	v_ashrrev_i32_e32 v17, 31, v16
	v_add_nc_u32_e32 v14, v0, v1
	v_ashrrev_i32_e32 v4, 31, v3
	v_ashrrev_i32_e32 v6, 31, v5
	v_lshlrev_b64 v[12:13], 3, v[12:13]
	v_ashrrev_i32_e32 v1, 31, v0
	v_ashrrev_i32_e32 v15, 31, v14
	v_lshlrev_b64 v[7:8], 3, v[3:4]
	v_lshlrev_b64 v[3:4], 3, v[5:6]
	;; [unrolled: 1-line block ×4, first 2 shown]
	v_add_co_u32 v5, vcc_lo, s12, v7
	v_add_co_ci_u32_e64 v6, null, s13, v8, vcc_lo
	v_add_co_u32 v3, vcc_lo, s12, v3
	v_add_co_ci_u32_e64 v4, null, s13, v4, vcc_lo
	s_clause 0x1
	global_load_dwordx2 v[5:6], v[5:6], off
	global_load_dwordx2 v[9:10], v[3:4], off
	v_ashrrev_i32_e32 v3, 31, v2
	v_add_co_u32 v7, vcc_lo, s10, v7
	v_add_co_ci_u32_e64 v8, null, s11, v8, vcc_lo
	v_lshlrev_b64 v[2:3], 3, v[2:3]
	v_add_co_u32 v2, vcc_lo, s10, v2
	v_add_co_ci_u32_e64 v3, null, s11, v3, vcc_lo
	s_clause 0x1
	global_load_dwordx2 v[7:8], v[7:8], off
	global_load_dwordx2 v[2:3], v[2:3], off
	v_add_co_u32 v18, vcc_lo, s14, v12
	v_add_co_ci_u32_e64 v19, null, s15, v13, vcc_lo
	v_add_co_u32 v13, vcc_lo, s14, v14
	v_add_co_ci_u32_e64 v14, null, s15, v15, vcc_lo
	s_clause 0x1
	global_load_dwordx2 v[18:19], v[18:19], off
	global_load_dwordx2 v[13:14], v[13:14], off
	v_ashrrev_i32_e32 v12, 31, v11
	v_lshlrev_b64 v[15:16], 3, v[16:17]
	v_lshlrev_b64 v[11:12], 3, v[11:12]
	v_add_co_u32 v11, vcc_lo, s14, v11
	v_add_co_ci_u32_e64 v12, null, s15, v12, vcc_lo
	v_add_co_u32 v15, vcc_lo, s14, v15
	v_add_co_ci_u32_e64 v16, null, s15, v16, vcc_lo
	s_clause 0x1
	global_load_dwordx2 v[11:12], v[11:12], off
	global_load_dwordx2 v[15:16], v[15:16], off
	s_waitcnt lgkmcnt(0)
	v_add_co_u32 v0, vcc_lo, s0, v0
	v_add_co_ci_u32_e64 v1, null, s1, v1, vcc_lo
	s_mov_b32 s0, 0x66666666
	s_mov_b32 s1, 0xbfe66666
	global_load_dwordx2 v[20:21], v[0:1], off
	s_waitcnt vmcnt(7)
	v_add_f64 v[4:5], v[5:6], -v[9:10]
	s_waitcnt vmcnt(5)
	v_add_f64 v[2:3], v[7:8], -v[2:3]
	v_ldexp_f64 v[4:5], v[4:5], 9
	s_waitcnt vmcnt(3)
	v_add_f64 v[13:14], v[18:19], v[13:14]
	v_fma_f64 v[2:3], 0x40800000, v[2:3], v[4:5]
	s_waitcnt vmcnt(1)
	v_add_f64 v[10:11], v[11:12], v[15:16]
	v_div_scale_f64 v[4:5], null, s[8:9], s[8:9], v[2:3]
	v_div_scale_f64 v[22:23], vcc_lo, v[2:3], s[8:9], v[2:3]
	v_rcp_f64_e32 v[6:7], v[4:5]
	v_fma_f64 v[8:9], -v[4:5], v[6:7], 1.0
	v_fma_f64 v[6:7], v[6:7], v[8:9], v[6:7]
	v_fma_f64 v[8:9], -v[4:5], v[6:7], 1.0
	v_fma_f64 v[6:7], v[6:7], v[8:9], v[6:7]
	v_mul_f64 v[8:9], v[22:23], v[6:7]
	v_fma_f64 v[4:5], -v[4:5], v[8:9], v[22:23]
	v_div_fmas_f64 v[4:5], v[4:5], v[6:7], v[8:9]
	v_ldexp_f64 v[6:7], v[13:14], 18
	v_div_fixup_f64 v[2:3], v[4:5], s[8:9], v[2:3]
	v_fma_f64 v[4:5], 0x41100000, v[10:11], v[6:7]
	v_add_f64 v[2:3], v[4:5], -v[2:3]
	s_waitcnt vmcnt(0)
	v_mul_f64 v[4:5], v[20:21], s[0:1]
	v_mul_f64 v[2:3], v[2:3], s[2:3]
	v_fma_f64 v[2:3], 0x3eb00000, v[2:3], v[4:5]
	global_store_dwordx2 v[0:1], v[2:3], off
	s_endpgm
	.section	.rodata,"a",@progbits
	.p2align	6, 0x0
	.amdhsa_kernel _Z12black_kerneldPKdS0_S0_Pd
		.amdhsa_group_segment_fixed_size 0
		.amdhsa_private_segment_fixed_size 0
		.amdhsa_kernarg_size 296
		.amdhsa_user_sgpr_count 6
		.amdhsa_user_sgpr_private_segment_buffer 1
		.amdhsa_user_sgpr_dispatch_ptr 0
		.amdhsa_user_sgpr_queue_ptr 0
		.amdhsa_user_sgpr_kernarg_segment_ptr 1
		.amdhsa_user_sgpr_dispatch_id 0
		.amdhsa_user_sgpr_flat_scratch_init 0
		.amdhsa_user_sgpr_private_segment_size 0
		.amdhsa_wavefront_size32 1
		.amdhsa_uses_dynamic_stack 0
		.amdhsa_system_sgpr_private_segment_wavefront_offset 0
		.amdhsa_system_sgpr_workgroup_id_x 1
		.amdhsa_system_sgpr_workgroup_id_y 1
		.amdhsa_system_sgpr_workgroup_id_z 0
		.amdhsa_system_sgpr_workgroup_info 0
		.amdhsa_system_vgpr_workitem_id 1
		.amdhsa_next_free_vgpr 24
		.amdhsa_next_free_sgpr 16
		.amdhsa_reserve_vcc 1
		.amdhsa_reserve_flat_scratch 0
		.amdhsa_float_round_mode_32 0
		.amdhsa_float_round_mode_16_64 0
		.amdhsa_float_denorm_mode_32 3
		.amdhsa_float_denorm_mode_16_64 3
		.amdhsa_dx10_clamp 1
		.amdhsa_ieee_mode 1
		.amdhsa_fp16_overflow 0
		.amdhsa_workgroup_processor_mode 1
		.amdhsa_memory_ordered 1
		.amdhsa_forward_progress 1
		.amdhsa_shared_vgpr_count 0
		.amdhsa_exception_fp_ieee_invalid_op 0
		.amdhsa_exception_fp_denorm_src 0
		.amdhsa_exception_fp_ieee_div_zero 0
		.amdhsa_exception_fp_ieee_overflow 0
		.amdhsa_exception_fp_ieee_underflow 0
		.amdhsa_exception_fp_ieee_inexact 0
		.amdhsa_exception_int_div_zero 0
	.end_amdhsa_kernel
	.text
.Lfunc_end7:
	.size	_Z12black_kerneldPKdS0_S0_Pd, .Lfunc_end7-_Z12black_kerneldPKdS0_S0_Pd
                                        ; -- End function
	.set _Z12black_kerneldPKdS0_S0_Pd.num_vgpr, 24
	.set _Z12black_kerneldPKdS0_S0_Pd.num_agpr, 0
	.set _Z12black_kerneldPKdS0_S0_Pd.numbered_sgpr, 16
	.set _Z12black_kerneldPKdS0_S0_Pd.num_named_barrier, 0
	.set _Z12black_kerneldPKdS0_S0_Pd.private_seg_size, 0
	.set _Z12black_kerneldPKdS0_S0_Pd.uses_vcc, 1
	.set _Z12black_kerneldPKdS0_S0_Pd.uses_flat_scratch, 0
	.set _Z12black_kerneldPKdS0_S0_Pd.has_dyn_sized_stack, 0
	.set _Z12black_kerneldPKdS0_S0_Pd.has_recursion, 0
	.set _Z12black_kerneldPKdS0_S0_Pd.has_indirect_call, 0
	.section	.AMDGPU.csdata,"",@progbits
; Kernel info:
; codeLenInByte = 736
; TotalNumSgprs: 18
; NumVgprs: 24
; ScratchSize: 0
; MemoryBound: 0
; FloatMode: 240
; IeeeMode: 1
; LDSByteSize: 0 bytes/workgroup (compile time only)
; SGPRBlocks: 0
; VGPRBlocks: 2
; NumSGPRsForWavesPerEU: 18
; NumVGPRsForWavesPerEU: 24
; Occupancy: 16
; WaveLimiterHint : 0
; COMPUTE_PGM_RSRC2:SCRATCH_EN: 0
; COMPUTE_PGM_RSRC2:USER_SGPR: 6
; COMPUTE_PGM_RSRC2:TRAP_HANDLER: 0
; COMPUTE_PGM_RSRC2:TGID_X_EN: 1
; COMPUTE_PGM_RSRC2:TGID_Y_EN: 1
; COMPUTE_PGM_RSRC2:TGID_Z_EN: 0
; COMPUTE_PGM_RSRC2:TIDIG_COMP_CNT: 1
	.text
	.protected	_Z13calc_residualdPKdS0_S0_S0_Pd ; -- Begin function _Z13calc_residualdPKdS0_S0_S0_Pd
	.globl	_Z13calc_residualdPKdS0_S0_S0_Pd
	.p2align	8
	.type	_Z13calc_residualdPKdS0_S0_S0_Pd,@function
_Z13calc_residualdPKdS0_S0_S0_Pd:       ; @_Z13calc_residualdPKdS0_S0_S0_Pd
; %bb.0:
	s_clause 0x2
	s_load_dword s0, s[4:5], 0x3c
	s_load_dwordx8 s[8:15], s[4:5], 0x0
	s_load_dwordx2 s[2:3], s[4:5], 0x20
	s_waitcnt lgkmcnt(0)
	s_lshr_b32 s1, s0, 16
	s_and_b32 s0, s0, 0xffff
	v_mad_u64_u32 v[1:2], null, s7, s1, v[1:2]
	s_mul_i32 s0, s6, s0
	v_add3_u32 v2, v0, s0, 1
	v_add_nc_u32_e32 v3, 1, v1
	v_mul_lo_u32 v4, 0x202, v1
	v_lshlrev_b32_e32 v5, 1, v2
	v_and_b32_e32 v26, 1, v1
	v_and_b32_e32 v35, 1, v3
	v_sub_nc_u32_e32 v6, v5, v26
	v_add_nc_u32_e32 v8, 0x202, v4
	v_sub_nc_u32_e32 v12, v5, v35
	v_add_nc_u32_e32 v10, 0x201, v4
	v_add_nc_u32_e32 v3, v6, v4
	;; [unrolled: 1-line block ×7, first 2 shown]
	v_ashrrev_i32_e32 v6, 31, v5
	v_ashrrev_i32_e32 v10, 31, v9
	;; [unrolled: 1-line block ×5, first 2 shown]
	v_lshlrev_b64 v[5:6], 3, v[5:6]
	v_lshlrev_b64 v[9:10], 3, v[9:10]
	;; [unrolled: 1-line block ×4, first 2 shown]
	v_ashrrev_i32_e32 v4, 31, v3
	v_lshlrev_b64 v[11:12], 3, v[11:12]
	v_add_co_u32 v15, vcc_lo, s12, v5
	v_add_co_ci_u32_e64 v16, null, s13, v6, vcc_lo
	v_add_co_u32 v17, vcc_lo, s12, v9
	v_add_co_ci_u32_e64 v18, null, s13, v10, vcc_lo
	;; [unrolled: 2-line block ×3, first 2 shown]
	v_add_co_u32 v7, vcc_lo, s12, v7
	v_lshlrev_b64 v[3:4], 3, v[3:4]
	v_add_co_ci_u32_e64 v8, null, s13, v8, vcc_lo
	v_add_co_u32 v5, vcc_lo, s10, v5
	v_add_co_ci_u32_e64 v6, null, s11, v6, vcc_lo
	v_add_co_u32 v9, vcc_lo, s10, v9
	;; [unrolled: 2-line block ×4, first 2 shown]
	v_add_co_ci_u32_e64 v4, null, s11, v4, vcc_lo
	s_clause 0x3
	global_load_dwordx2 v[17:18], v[17:18], off
	global_load_dwordx2 v[13:14], v[13:14], off
	;; [unrolled: 1-line block ×4, first 2 shown]
	s_clause 0x3
	global_load_dwordx2 v[9:10], v[9:10], off
	global_load_dwordx2 v[11:12], v[11:12], off
	;; [unrolled: 1-line block ×4, first 2 shown]
	s_load_dword s1, s[4:5], 0x34
	s_waitcnt vmcnt(6)
	v_add_f64 v[13:14], v[17:18], -v[13:14]
	s_waitcnt vmcnt(4)
	v_add_f64 v[7:8], v[15:16], -v[7:8]
	s_waitcnt vmcnt(0)
	v_mad_u64_u32 v[1:2], null, 0x102, v1, v[2:3]
	v_add_f64 v[9:10], v[9:10], -v[11:12]
	v_add_f64 v[3:4], v[5:6], -v[3:4]
	v_add_nc_u32_e32 v19, 0x102, v1
	v_add_nc_u32_e32 v23, 0x204, v1
	v_ashrrev_i32_e32 v2, 31, v1
	v_add_nc_u32_e32 v21, v19, v35
	v_ashrrev_i32_e32 v20, 31, v19
	v_sub_nc_u32_e32 v25, v19, v26
	v_ashrrev_i32_e32 v24, 31, v23
	v_lshlrev_b64 v[1:2], 3, v[1:2]
	v_ashrrev_i32_e32 v22, 31, v21
	v_lshlrev_b64 v[27:28], 3, v[19:20]
	v_add_nc_u32_e32 v20, v19, v26
	v_ashrrev_i32_e32 v26, 31, v25
	v_sub_nc_u32_e32 v19, v19, v35
	v_lshlrev_b64 v[21:22], 3, v[21:22]
	v_ldexp_f64 v[11:12], v[13:14], 9
	v_add_co_u32 v29, vcc_lo, s2, v27
	v_add_co_ci_u32_e64 v30, null, s3, v28, vcc_lo
	v_add_co_u32 v31, vcc_lo, s14, v21
	v_add_co_ci_u32_e64 v32, null, s15, v22, vcc_lo
	global_load_dwordx2 v[29:30], v[29:30], off
	global_load_dwordx2 v[31:32], v[31:32], off
	v_ashrrev_i32_e32 v21, 31, v20
	v_lshlrev_b64 v[22:23], 3, v[23:24]
	v_lshlrev_b64 v[24:25], 3, v[25:26]
	v_add_co_u32 v26, vcc_lo, s14, v27
	v_lshlrev_b64 v[20:21], 3, v[20:21]
	v_add_co_ci_u32_e64 v27, null, s15, v28, vcc_lo
	v_add_co_u32 v33, vcc_lo, s14, v22
	v_add_co_ci_u32_e64 v34, null, s15, v23, vcc_lo
	v_add_co_u32 v20, vcc_lo, s2, v20
	;; [unrolled: 2-line block ×3, first 2 shown]
	v_add_co_ci_u32_e64 v25, null, s15, v25, vcc_lo
	s_clause 0x1
	global_load_dwordx2 v[26:27], v[26:27], off
	global_load_dwordx2 v[33:34], v[33:34], off
	;; [unrolled: 1-line block ×4, first 2 shown]
	v_ashrrev_i32_e32 v20, 31, v19
	v_add_co_u32 v37, vcc_lo, s14, v1
	v_add_co_ci_u32_e64 v38, null, s15, v2, vcc_lo
	v_lshlrev_b64 v[19:20], 3, v[19:20]
	v_add_co_u32 v21, vcc_lo, s2, v22
	v_add_co_ci_u32_e64 v22, null, s3, v23, vcc_lo
	v_ldexp_f64 v[5:6], v[7:8], 9
	v_add_co_u32 v19, vcc_lo, s2, v19
	v_add_co_ci_u32_e64 v20, null, s3, v20, vcc_lo
	global_load_dwordx2 v[21:22], v[21:22], off
	global_load_dwordx2 v[37:38], v[37:38], off
	;; [unrolled: 1-line block ×3, first 2 shown]
	v_add_co_u32 v1, vcc_lo, s2, v1
	v_add_co_ci_u32_e64 v2, null, s3, v2, vcc_lo
	v_fma_f64 v[7:8], 0x40800000, v[9:10], v[11:12]
	global_load_dwordx2 v[1:2], v[1:2], off
	v_fma_f64 v[3:4], 0x40800000, v[3:4], v[5:6]
	v_div_scale_f64 v[5:6], null, s[8:9], s[8:9], v[7:8]
	v_div_scale_f64 v[39:40], vcc_lo, v[7:8], s[8:9], v[7:8]
	v_div_scale_f64 v[9:10], null, s[8:9], s[8:9], v[3:4]
	v_rcp_f64_e32 v[11:12], v[5:6]
	v_rcp_f64_e32 v[13:14], v[9:10]
	v_fma_f64 v[15:16], -v[5:6], v[11:12], 1.0
	v_fma_f64 v[17:18], -v[9:10], v[13:14], 1.0
	v_fma_f64 v[11:12], v[11:12], v[15:16], v[11:12]
	v_fma_f64 v[13:14], v[13:14], v[17:18], v[13:14]
	v_fma_f64 v[15:16], -v[5:6], v[11:12], 1.0
	v_fma_f64 v[17:18], -v[9:10], v[13:14], 1.0
	v_fma_f64 v[11:12], v[11:12], v[15:16], v[11:12]
	v_div_scale_f64 v[15:16], s0, v[3:4], s[8:9], v[3:4]
	v_fma_f64 v[13:14], v[13:14], v[17:18], v[13:14]
	v_mul_f64 v[41:42], v[15:16], v[13:14]
	v_fma_f64 v[9:10], -v[9:10], v[41:42], v[15:16]
	s_waitcnt vmcnt(8)
	v_fma_f64 v[17:18], v[29:30], -2.0, v[31:32]
	v_mul_f64 v[31:32], v[39:40], v[11:12]
	s_waitcnt vmcnt(6)
	v_fma_f64 v[28:29], v[29:30], -2.0, v[33:34]
	s_waitcnt vmcnt(5)
	v_fma_f64 v[33:34], v[26:27], -2.0, v[35:36]
	s_waitcnt vmcnt(4)
	v_add_f64 v[17:18], v[24:25], v[17:18]
	v_fma_f64 v[5:6], -v[5:6], v[31:32], v[39:40]
	s_waitcnt vmcnt(3)
	v_fma_f64 v[15:16], v[26:27], -2.0, v[21:22]
	s_waitcnt vmcnt(2)
	v_add_f64 v[21:22], v[37:38], v[28:29]
	s_waitcnt vmcnt(1)
	v_add_f64 v[19:20], v[19:20], v[33:34]
	v_ldexp_f64 v[17:18], v[17:18], 18
	v_div_fmas_f64 v[5:6], v[5:6], v[11:12], v[31:32]
	s_mov_b32 vcc_lo, s0
	s_mov_b32 s0, exec_lo
	v_div_fmas_f64 v[9:10], v[9:10], v[13:14], v[41:42]
	s_waitcnt vmcnt(0)
	v_add_f64 v[1:2], v[1:2], v[15:16]
	v_ldexp_f64 v[11:12], v[19:20], 18
	v_fma_f64 v[13:14], 0x41100000, v[21:22], v[17:18]
	v_div_fixup_f64 v[5:6], v[5:6], s[8:9], v[7:8]
	v_div_fixup_f64 v[3:4], v[9:10], s[8:9], v[3:4]
	v_fma_f64 v[1:2], 0x41100000, v[1:2], v[11:12]
	v_add_f64 v[3:4], v[13:14], -v[3:4]
	v_add_f64 v[1:2], v[1:2], -v[5:6]
	v_mul_f64 v[3:4], v[3:4], v[3:4]
	v_fma_f64 v[2:3], v[1:2], v[1:2], v[3:4]
	v_lshlrev_b32_e32 v1, 3, v0
	ds_write_b64 v1, v[2:3]
	s_waitcnt lgkmcnt(0)
	s_barrier
	buffer_gl0_inv
	v_cmpx_gt_u32_e32 64, v0
	s_cbranch_execz .LBB8_2
; %bb.1:
	ds_read2st64_b64 v[2:5], v1 offset1:1
	s_waitcnt lgkmcnt(0)
	v_add_f64 v[2:3], v[4:5], v[2:3]
	ds_write_b64 v1, v[2:3]
.LBB8_2:
	s_or_b32 exec_lo, exec_lo, s0
	s_mov_b32 s0, exec_lo
	s_waitcnt lgkmcnt(0)
	s_barrier
	buffer_gl0_inv
	v_cmpx_gt_u32_e32 32, v0
	s_cbranch_execz .LBB8_4
; %bb.3:
	ds_read2_b64 v[2:5], v1 offset1:32
	s_waitcnt lgkmcnt(0)
	v_add_f64 v[2:3], v[4:5], v[2:3]
	ds_write_b64 v1, v[2:3]
.LBB8_4:
	s_or_b32 exec_lo, exec_lo, s0
	s_mov_b32 s0, exec_lo
	s_waitcnt lgkmcnt(0)
	s_barrier
	buffer_gl0_inv
	v_cmpx_gt_u32_e32 16, v0
	s_cbranch_execz .LBB8_6
; %bb.5:
	ds_read2_b64 v[2:5], v1 offset1:16
	s_waitcnt lgkmcnt(0)
	v_add_f64 v[2:3], v[4:5], v[2:3]
	ds_write_b64 v1, v[2:3]
.LBB8_6:
	s_or_b32 exec_lo, exec_lo, s0
	s_mov_b32 s0, exec_lo
	s_waitcnt lgkmcnt(0)
	s_barrier
	buffer_gl0_inv
	v_cmpx_gt_u32_e32 8, v0
	s_cbranch_execz .LBB8_8
; %bb.7:
	ds_read2_b64 v[2:5], v1 offset1:8
	s_waitcnt lgkmcnt(0)
	v_add_f64 v[2:3], v[4:5], v[2:3]
	ds_write_b64 v1, v[2:3]
.LBB8_8:
	s_or_b32 exec_lo, exec_lo, s0
	s_mov_b32 s0, exec_lo
	s_waitcnt lgkmcnt(0)
	s_barrier
	buffer_gl0_inv
	v_cmpx_gt_u32_e32 4, v0
	s_cbranch_execz .LBB8_10
; %bb.9:
	ds_read2_b64 v[2:5], v1 offset1:4
	s_waitcnt lgkmcnt(0)
	v_add_f64 v[2:3], v[4:5], v[2:3]
	ds_write_b64 v1, v[2:3]
.LBB8_10:
	s_or_b32 exec_lo, exec_lo, s0
	s_mov_b32 s0, exec_lo
	s_waitcnt lgkmcnt(0)
	s_barrier
	buffer_gl0_inv
	v_cmpx_gt_u32_e32 2, v0
	s_cbranch_execz .LBB8_12
; %bb.11:
	ds_read2_b64 v[2:5], v1 offset1:2
	s_waitcnt lgkmcnt(0)
	v_add_f64 v[2:3], v[4:5], v[2:3]
	ds_write_b64 v1, v[2:3]
.LBB8_12:
	s_or_b32 exec_lo, exec_lo, s0
	v_cmp_eq_u32_e32 vcc_lo, 0, v0
	s_waitcnt lgkmcnt(0)
	s_barrier
	buffer_gl0_inv
	s_and_saveexec_b32 s0, vcc_lo
	s_cbranch_execz .LBB8_14
; %bb.13:
	ds_read2_b64 v[2:5], v1 offset1:1
	s_waitcnt lgkmcnt(0)
	v_add_f64 v[2:3], v[4:5], v[2:3]
	ds_write_b64 v1, v[2:3]
.LBB8_14:
	s_or_b32 exec_lo, exec_lo, s0
	s_waitcnt lgkmcnt(0)
	s_barrier
	buffer_gl0_inv
	s_and_saveexec_b32 s0, vcc_lo
	s_cbranch_execz .LBB8_16
; %bb.15:
	v_mov_b32_e32 v2, 0
	s_load_dwordx2 s[2:3], s[4:5], 0x28
	s_mul_i32 s0, s1, s6
	s_mov_b32 s1, 0
	s_add_i32 s0, s0, s7
	ds_read_b64 v[0:1], v2
	s_lshl_b64 s[0:1], s[0:1], 3
	s_waitcnt lgkmcnt(0)
	s_add_u32 s0, s2, s0
	s_addc_u32 s1, s3, s1
	global_store_dwordx2 v2, v[0:1], s[0:1]
.LBB8_16:
	s_endpgm
	.section	.rodata,"a",@progbits
	.p2align	6, 0x0
	.amdhsa_kernel _Z13calc_residualdPKdS0_S0_S0_Pd
		.amdhsa_group_segment_fixed_size 1024
		.amdhsa_private_segment_fixed_size 0
		.amdhsa_kernarg_size 304
		.amdhsa_user_sgpr_count 6
		.amdhsa_user_sgpr_private_segment_buffer 1
		.amdhsa_user_sgpr_dispatch_ptr 0
		.amdhsa_user_sgpr_queue_ptr 0
		.amdhsa_user_sgpr_kernarg_segment_ptr 1
		.amdhsa_user_sgpr_dispatch_id 0
		.amdhsa_user_sgpr_flat_scratch_init 0
		.amdhsa_user_sgpr_private_segment_size 0
		.amdhsa_wavefront_size32 1
		.amdhsa_uses_dynamic_stack 0
		.amdhsa_system_sgpr_private_segment_wavefront_offset 0
		.amdhsa_system_sgpr_workgroup_id_x 1
		.amdhsa_system_sgpr_workgroup_id_y 1
		.amdhsa_system_sgpr_workgroup_id_z 0
		.amdhsa_system_sgpr_workgroup_info 0
		.amdhsa_system_vgpr_workitem_id 1
		.amdhsa_next_free_vgpr 43
		.amdhsa_next_free_sgpr 16
		.amdhsa_reserve_vcc 1
		.amdhsa_reserve_flat_scratch 0
		.amdhsa_float_round_mode_32 0
		.amdhsa_float_round_mode_16_64 0
		.amdhsa_float_denorm_mode_32 3
		.amdhsa_float_denorm_mode_16_64 3
		.amdhsa_dx10_clamp 1
		.amdhsa_ieee_mode 1
		.amdhsa_fp16_overflow 0
		.amdhsa_workgroup_processor_mode 1
		.amdhsa_memory_ordered 1
		.amdhsa_forward_progress 1
		.amdhsa_shared_vgpr_count 0
		.amdhsa_exception_fp_ieee_invalid_op 0
		.amdhsa_exception_fp_denorm_src 0
		.amdhsa_exception_fp_ieee_div_zero 0
		.amdhsa_exception_fp_ieee_overflow 0
		.amdhsa_exception_fp_ieee_underflow 0
		.amdhsa_exception_fp_ieee_inexact 0
		.amdhsa_exception_int_div_zero 0
	.end_amdhsa_kernel
	.text
.Lfunc_end8:
	.size	_Z13calc_residualdPKdS0_S0_S0_Pd, .Lfunc_end8-_Z13calc_residualdPKdS0_S0_S0_Pd
                                        ; -- End function
	.set _Z13calc_residualdPKdS0_S0_S0_Pd.num_vgpr, 43
	.set _Z13calc_residualdPKdS0_S0_S0_Pd.num_agpr, 0
	.set _Z13calc_residualdPKdS0_S0_S0_Pd.numbered_sgpr, 16
	.set _Z13calc_residualdPKdS0_S0_S0_Pd.num_named_barrier, 0
	.set _Z13calc_residualdPKdS0_S0_S0_Pd.private_seg_size, 0
	.set _Z13calc_residualdPKdS0_S0_S0_Pd.uses_vcc, 1
	.set _Z13calc_residualdPKdS0_S0_S0_Pd.uses_flat_scratch, 0
	.set _Z13calc_residualdPKdS0_S0_S0_Pd.has_dyn_sized_stack, 0
	.set _Z13calc_residualdPKdS0_S0_S0_Pd.has_recursion, 0
	.set _Z13calc_residualdPKdS0_S0_S0_Pd.has_indirect_call, 0
	.section	.AMDGPU.csdata,"",@progbits
; Kernel info:
; codeLenInByte = 1732
; TotalNumSgprs: 18
; NumVgprs: 43
; ScratchSize: 0
; MemoryBound: 0
; FloatMode: 240
; IeeeMode: 1
; LDSByteSize: 1024 bytes/workgroup (compile time only)
; SGPRBlocks: 0
; VGPRBlocks: 5
; NumSGPRsForWavesPerEU: 18
; NumVGPRsForWavesPerEU: 43
; Occupancy: 16
; WaveLimiterHint : 0
; COMPUTE_PGM_RSRC2:SCRATCH_EN: 0
; COMPUTE_PGM_RSRC2:USER_SGPR: 6
; COMPUTE_PGM_RSRC2:TRAP_HANDLER: 0
; COMPUTE_PGM_RSRC2:TGID_X_EN: 1
; COMPUTE_PGM_RSRC2:TGID_Y_EN: 1
; COMPUTE_PGM_RSRC2:TGID_Z_EN: 0
; COMPUTE_PGM_RSRC2:TIDIG_COMP_CNT: 1
	.text
	.protected	_Z11calculate_udPKdS0_S0_PdS1_ ; -- Begin function _Z11calculate_udPKdS0_S0_PdS1_
	.globl	_Z11calculate_udPKdS0_S0_PdS1_
	.p2align	8
	.type	_Z11calculate_udPKdS0_S0_PdS1_,@function
_Z11calculate_udPKdS0_S0_PdS1_:         ; @_Z11calculate_udPKdS0_S0_PdS1_
; %bb.0:
	s_clause 0x2
	s_load_dword s3, s[4:5], 0x3c
	s_load_dwordx2 s[0:1], s[4:5], 0x20
	s_load_dword s2, s[4:5], 0x34
	s_waitcnt lgkmcnt(0)
	s_lshr_b32 s8, s3, 16
	s_and_b32 s3, s3, 0xffff
	v_mad_u64_u32 v[3:4], null, s7, s8, v[1:2]
	s_mul_i32 s3, s6, s3
                                        ; implicit-def: $vgpr4_vgpr5
	v_add3_u32 v1, v0, s3, 1
	s_mov_b32 s3, exec_lo
	v_add_nc_u32_e32 v6, 1, v3
	v_lshlrev_b32_e32 v2, 1, v1
	v_cmpx_ne_u32_e32 0x200, v6
	s_xor_b32 s3, exec_lo, s3
	s_cbranch_execz .LBB9_4
; %bb.1:
	s_load_dwordx8 s[8:15], s[4:5], 0x0
	v_mul_lo_u32 v7, 0x102, v3
	v_mad_u64_u32 v[4:5], null, 0x102, v6, v[1:2]
	v_and_b32_e32 v13, 1, v6
	v_mul_lo_u32 v6, 0x202, v6
	v_and_b32_e32 v3, 1, v3
	v_sub_nc_u32_e32 v13, v2, v13
	v_add3_u32 v7, v1, v7, 0x204
	v_ashrrev_i32_e32 v5, 31, v4
	v_sub_nc_u32_e32 v3, v2, v3
	v_add_nc_u32_e32 v2, v13, v6
	v_ashrrev_i32_e32 v8, 31, v7
	v_lshlrev_b64 v[4:5], 3, v[4:5]
	v_add_nc_u32_e32 v13, v3, v6
	v_ashrrev_i32_e32 v3, 31, v2
	v_lshlrev_b64 v[7:8], 3, v[7:8]
	s_waitcnt lgkmcnt(0)
	v_add_co_u32 v9, vcc_lo, s12, v4
	v_add_co_ci_u32_e64 v10, null, s13, v5, vcc_lo
	v_add_co_u32 v4, vcc_lo, s14, v4
	v_add_co_ci_u32_e64 v5, null, s15, v5, vcc_lo
	;; [unrolled: 2-line block ×4, first 2 shown]
	global_load_dwordx2 v[9:10], v[9:10], off
	s_clause 0x1
	global_load_dwordx2 v[4:5], v[4:5], off
	global_load_dwordx2 v[11:12], v[11:12], off
	;; [unrolled: 1-line block ×3, first 2 shown]
	v_ashrrev_i32_e32 v14, 31, v13
	v_lshlrev_b64 v[2:3], 3, v[2:3]
	v_lshlrev_b64 v[13:14], 3, v[13:14]
	v_add_co_u32 v15, vcc_lo, s10, v2
	v_add_co_ci_u32_e64 v16, null, s11, v3, vcc_lo
	v_add_co_u32 v17, vcc_lo, s10, v13
	v_add_co_ci_u32_e64 v18, null, s11, v14, vcc_lo
	s_clause 0x1
	global_load_dwordx2 v[15:16], v[15:16], off
	global_load_dwordx2 v[17:18], v[17:18], off
	v_add_co_u32 v2, vcc_lo, s0, v2
	v_add_co_ci_u32_e64 v3, null, s1, v3, vcc_lo
	s_waitcnt vmcnt(3)
	v_add_f64 v[9:10], v[11:12], -v[9:10]
	s_waitcnt vmcnt(2)
	v_add_f64 v[4:5], v[7:8], -v[4:5]
	v_add_co_u32 v11, vcc_lo, s0, v13
	v_add_co_ci_u32_e64 v12, null, s1, v14, vcc_lo
	v_mul_f64 v[7:8], s[8:9], v[9:10]
	v_mul_f64 v[4:5], s[8:9], v[4:5]
	s_mov_b32 s8, exec_lo
	s_waitcnt vmcnt(1)
	v_fma_f64 v[7:8], 0xc0800000, v[7:8], v[15:16]
	s_waitcnt vmcnt(0)
	v_fma_f64 v[9:10], 0xc0800000, v[4:5], v[17:18]
	global_store_dwordx2 v[2:3], v[7:8], off
	global_store_dwordx2 v[11:12], v[9:10], off
	v_max_f64 v[4:5], |v[7:8]|, |v[9:10]|
	v_cmpx_eq_u32_e32 0x100, v1
	s_cbranch_execz .LBB9_3
; %bb.2:
	v_ashrrev_i32_e32 v7, 31, v6
	v_max_f64 v[3:4], v[4:5], v[4:5]
	v_lshlrev_b64 v[1:2], 3, v[6:7]
	v_add_co_u32 v1, vcc_lo, s0, v1
	v_add_co_ci_u32_e64 v2, null, s1, v2, vcc_lo
	v_add_co_u32 v1, vcc_lo, 0x1000, v1
	v_add_co_ci_u32_e64 v2, null, 0, v2, vcc_lo
	global_load_dwordx2 v[1:2], v[1:2], off offset:8
	s_waitcnt vmcnt(0)
	v_max_f64 v[1:2], |v[1:2]|, |v[1:2]|
	v_max_f64 v[4:5], v[3:4], v[1:2]
.LBB9_3:
	s_or_b32 exec_lo, exec_lo, s8
                                        ; implicit-def: $vgpr2
.LBB9_4:
	s_andn2_saveexec_b32 s3, s3
	s_cbranch_execz .LBB9_6
; %bb.5:
	v_ashrrev_i32_e32 v3, 31, v2
	v_lshlrev_b64 v[1:2], 3, v[2:3]
	v_add_co_u32 v9, vcc_lo, s0, v1
	v_add_co_ci_u32_e64 v10, null, s1, v2, vcc_lo
	v_add_co_u32 v1, vcc_lo, 0x201800, v9
	v_add_co_ci_u32_e64 v2, null, 0, v10, vcc_lo
	s_clause 0x1
	global_load_dwordx4 v[1:4], v[1:2], off offset:2040
	global_load_dwordx4 v[5:8], v[9:10], off offset:-8
	v_add_co_u32 v9, vcc_lo, 0x203000, v9
	v_add_co_ci_u32_e64 v10, null, 0, v10, vcc_lo
	global_load_dwordx4 v[9:12], v[9:10], off offset:8
	s_waitcnt vmcnt(2)
	v_max_f64 v[3:4], |v[3:4]|, |v[3:4]|
	s_waitcnt vmcnt(1)
	v_max_f64 v[7:8], |v[7:8]|, |v[7:8]|
	v_max_f64 v[1:2], |v[1:2]|, |v[1:2]|
	;; [unrolled: 1-line block ×3, first 2 shown]
	v_max_f64 v[3:4], v[3:4], v[7:8]
	v_max_f64 v[1:2], v[1:2], v[3:4]
	s_waitcnt vmcnt(0)
	v_max_f64 v[3:4], |v[11:12]|, |v[11:12]|
	v_max_f64 v[1:2], v[5:6], v[1:2]
	v_max_f64 v[1:2], v[3:4], v[1:2]
	v_max_f64 v[3:4], |v[9:10]|, |v[9:10]|
	v_max_f64 v[4:5], v[3:4], v[1:2]
.LBB9_6:
	s_or_b32 exec_lo, exec_lo, s3
	v_lshlrev_b32_e32 v1, 3, v0
	s_mov_b32 s0, exec_lo
	ds_write_b64 v1, v[4:5]
	s_waitcnt lgkmcnt(0)
	s_waitcnt_vscnt null, 0x0
	s_barrier
	buffer_gl0_inv
	v_cmpx_gt_u32_e32 64, v0
	s_cbranch_execz .LBB9_8
; %bb.7:
	ds_read2st64_b64 v[2:5], v1 offset1:1
	s_waitcnt lgkmcnt(0)
	v_max_f64 v[4:5], v[4:5], v[4:5]
	v_max_f64 v[2:3], v[2:3], v[2:3]
	;; [unrolled: 1-line block ×3, first 2 shown]
	ds_write_b64 v1, v[2:3]
.LBB9_8:
	s_or_b32 exec_lo, exec_lo, s0
	s_mov_b32 s0, exec_lo
	s_waitcnt lgkmcnt(0)
	s_barrier
	buffer_gl0_inv
	v_cmpx_gt_u32_e32 32, v0
	s_cbranch_execz .LBB9_10
; %bb.9:
	ds_read2_b64 v[2:5], v1 offset1:32
	s_waitcnt lgkmcnt(0)
	v_max_f64 v[4:5], v[4:5], v[4:5]
	v_max_f64 v[2:3], v[2:3], v[2:3]
	v_max_f64 v[2:3], v[2:3], v[4:5]
	ds_write_b64 v1, v[2:3]
.LBB9_10:
	s_or_b32 exec_lo, exec_lo, s0
	s_mov_b32 s0, exec_lo
	s_waitcnt lgkmcnt(0)
	s_barrier
	buffer_gl0_inv
	v_cmpx_gt_u32_e32 16, v0
	s_cbranch_execz .LBB9_12
; %bb.11:
	ds_read2_b64 v[2:5], v1 offset1:16
	s_waitcnt lgkmcnt(0)
	v_max_f64 v[4:5], v[4:5], v[4:5]
	v_max_f64 v[2:3], v[2:3], v[2:3]
	v_max_f64 v[2:3], v[2:3], v[4:5]
	ds_write_b64 v1, v[2:3]
.LBB9_12:
	;; [unrolled: 15-line block ×5, first 2 shown]
	s_or_b32 exec_lo, exec_lo, s0
	v_cmp_eq_u32_e32 vcc_lo, 0, v0
	s_waitcnt lgkmcnt(0)
	s_barrier
	buffer_gl0_inv
	s_and_saveexec_b32 s0, vcc_lo
	s_cbranch_execz .LBB9_20
; %bb.19:
	ds_read2_b64 v[2:5], v1 offset1:1
	s_waitcnt lgkmcnt(0)
	v_max_f64 v[4:5], v[4:5], v[4:5]
	v_max_f64 v[2:3], v[2:3], v[2:3]
	v_max_f64 v[2:3], v[2:3], v[4:5]
	ds_write_b64 v1, v[2:3]
.LBB9_20:
	s_or_b32 exec_lo, exec_lo, s0
	s_waitcnt lgkmcnt(0)
	s_barrier
	buffer_gl0_inv
	s_and_saveexec_b32 s0, vcc_lo
	s_cbranch_execz .LBB9_22
; %bb.21:
	v_mov_b32_e32 v2, 0
	s_load_dwordx2 s[0:1], s[4:5], 0x28
	s_mul_i32 s2, s2, s6
	s_mov_b32 s3, 0
	s_add_i32 s2, s2, s7
	ds_read_b64 v[0:1], v2
	s_lshl_b64 s[2:3], s[2:3], 3
	s_waitcnt lgkmcnt(0)
	s_add_u32 s0, s0, s2
	s_addc_u32 s1, s1, s3
	global_store_dwordx2 v2, v[0:1], s[0:1]
.LBB9_22:
	s_endpgm
	.section	.rodata,"a",@progbits
	.p2align	6, 0x0
	.amdhsa_kernel _Z11calculate_udPKdS0_S0_PdS1_
		.amdhsa_group_segment_fixed_size 1024
		.amdhsa_private_segment_fixed_size 0
		.amdhsa_kernarg_size 304
		.amdhsa_user_sgpr_count 6
		.amdhsa_user_sgpr_private_segment_buffer 1
		.amdhsa_user_sgpr_dispatch_ptr 0
		.amdhsa_user_sgpr_queue_ptr 0
		.amdhsa_user_sgpr_kernarg_segment_ptr 1
		.amdhsa_user_sgpr_dispatch_id 0
		.amdhsa_user_sgpr_flat_scratch_init 0
		.amdhsa_user_sgpr_private_segment_size 0
		.amdhsa_wavefront_size32 1
		.amdhsa_uses_dynamic_stack 0
		.amdhsa_system_sgpr_private_segment_wavefront_offset 0
		.amdhsa_system_sgpr_workgroup_id_x 1
		.amdhsa_system_sgpr_workgroup_id_y 1
		.amdhsa_system_sgpr_workgroup_id_z 0
		.amdhsa_system_sgpr_workgroup_info 0
		.amdhsa_system_vgpr_workitem_id 1
		.amdhsa_next_free_vgpr 19
		.amdhsa_next_free_sgpr 16
		.amdhsa_reserve_vcc 1
		.amdhsa_reserve_flat_scratch 0
		.amdhsa_float_round_mode_32 0
		.amdhsa_float_round_mode_16_64 0
		.amdhsa_float_denorm_mode_32 3
		.amdhsa_float_denorm_mode_16_64 3
		.amdhsa_dx10_clamp 1
		.amdhsa_ieee_mode 1
		.amdhsa_fp16_overflow 0
		.amdhsa_workgroup_processor_mode 1
		.amdhsa_memory_ordered 1
		.amdhsa_forward_progress 1
		.amdhsa_shared_vgpr_count 0
		.amdhsa_exception_fp_ieee_invalid_op 0
		.amdhsa_exception_fp_denorm_src 0
		.amdhsa_exception_fp_ieee_div_zero 0
		.amdhsa_exception_fp_ieee_overflow 0
		.amdhsa_exception_fp_ieee_underflow 0
		.amdhsa_exception_fp_ieee_inexact 0
		.amdhsa_exception_int_div_zero 0
	.end_amdhsa_kernel
	.text
.Lfunc_end9:
	.size	_Z11calculate_udPKdS0_S0_PdS1_, .Lfunc_end9-_Z11calculate_udPKdS0_S0_PdS1_
                                        ; -- End function
	.set _Z11calculate_udPKdS0_S0_PdS1_.num_vgpr, 19
	.set _Z11calculate_udPKdS0_S0_PdS1_.num_agpr, 0
	.set _Z11calculate_udPKdS0_S0_PdS1_.numbered_sgpr, 16
	.set _Z11calculate_udPKdS0_S0_PdS1_.num_named_barrier, 0
	.set _Z11calculate_udPKdS0_S0_PdS1_.private_seg_size, 0
	.set _Z11calculate_udPKdS0_S0_PdS1_.uses_vcc, 1
	.set _Z11calculate_udPKdS0_S0_PdS1_.uses_flat_scratch, 0
	.set _Z11calculate_udPKdS0_S0_PdS1_.has_dyn_sized_stack, 0
	.set _Z11calculate_udPKdS0_S0_PdS1_.has_recursion, 0
	.set _Z11calculate_udPKdS0_S0_PdS1_.has_indirect_call, 0
	.section	.AMDGPU.csdata,"",@progbits
; Kernel info:
; codeLenInByte = 1448
; TotalNumSgprs: 18
; NumVgprs: 19
; ScratchSize: 0
; MemoryBound: 0
; FloatMode: 240
; IeeeMode: 1
; LDSByteSize: 1024 bytes/workgroup (compile time only)
; SGPRBlocks: 0
; VGPRBlocks: 2
; NumSGPRsForWavesPerEU: 18
; NumVGPRsForWavesPerEU: 19
; Occupancy: 16
; WaveLimiterHint : 1
; COMPUTE_PGM_RSRC2:SCRATCH_EN: 0
; COMPUTE_PGM_RSRC2:USER_SGPR: 6
; COMPUTE_PGM_RSRC2:TRAP_HANDLER: 0
; COMPUTE_PGM_RSRC2:TGID_X_EN: 1
; COMPUTE_PGM_RSRC2:TGID_Y_EN: 1
; COMPUTE_PGM_RSRC2:TGID_Z_EN: 0
; COMPUTE_PGM_RSRC2:TIDIG_COMP_CNT: 1
	.text
	.protected	_Z11calculate_vdPKdS0_S0_PdS1_ ; -- Begin function _Z11calculate_vdPKdS0_S0_PdS1_
	.globl	_Z11calculate_vdPKdS0_S0_PdS1_
	.p2align	8
	.type	_Z11calculate_vdPKdS0_S0_PdS1_,@function
_Z11calculate_vdPKdS0_S0_PdS1_:         ; @_Z11calculate_vdPKdS0_S0_PdS1_
; %bb.0:
	s_clause 0x2
	s_load_dword s3, s[4:5], 0x3c
	s_load_dwordx2 s[0:1], s[4:5], 0x20
	s_load_dword s2, s[4:5], 0x34
	s_waitcnt lgkmcnt(0)
	s_lshr_b32 s8, s3, 16
	s_and_b32 s3, s3, 0xffff
	v_mad_u64_u32 v[3:4], null, s7, s8, v[1:2]
	s_load_dwordx8 s[8:15], s[4:5], 0x0
	s_mul_i32 s3, s6, s3
	v_add3_u32 v2, v0, s3, 1
	s_mov_b32 s3, exec_lo
	v_add_nc_u32_e32 v6, 1, v3
	v_and_b32_e32 v7, 1, v3
                                        ; implicit-def: $vgpr3_vgpr4
	v_mul_lo_u32 v1, 0x202, v6
	v_cmpx_ne_u32_e32 0x100, v2
	s_xor_b32 s3, exec_lo, s3
	s_cbranch_execz .LBB10_4
; %bb.1:
	v_mad_u64_u32 v[3:4], null, 0x102, v6, v[2:3]
	v_and_b32_e32 v14, 1, v6
	v_lshlrev_b32_e32 v5, 1, v2
	s_mov_b32 s16, exec_lo
	v_sub_nc_u32_e32 v2, v5, v14
	v_add_nc_u32_e32 v8, v3, v7
	v_ashrrev_i32_e32 v4, 31, v3
	v_add_nc_u32_e32 v10, v3, v14
	v_sub_nc_u32_e32 v7, v5, v7
	v_add_nc_u32_e32 v14, v2, v1
	v_ashrrev_i32_e32 v9, 31, v8
	v_lshlrev_b64 v[3:4], 3, v[3:4]
	v_ashrrev_i32_e32 v11, 31, v10
	v_add_nc_u32_e32 v1, v7, v1
	v_ashrrev_i32_e32 v15, 31, v14
	v_lshlrev_b64 v[8:9], 3, v[8:9]
	v_lshlrev_b64 v[10:11], 3, v[10:11]
	s_waitcnt lgkmcnt(0)
	v_add_co_u32 v12, vcc_lo, s12, v3
	v_add_co_ci_u32_e64 v13, null, s13, v4, vcc_lo
	v_add_co_u32 v3, vcc_lo, s14, v3
	v_add_co_ci_u32_e64 v4, null, s15, v4, vcc_lo
	;; [unrolled: 2-line block ×4, first 2 shown]
	global_load_dwordx2 v[12:13], v[12:13], off
	s_clause 0x1
	global_load_dwordx2 v[3:4], v[3:4], off
	global_load_dwordx2 v[8:9], v[8:9], off
	;; [unrolled: 1-line block ×3, first 2 shown]
	v_ashrrev_i32_e32 v2, 31, v1
	v_lshlrev_b64 v[14:15], 3, v[14:15]
	v_lshlrev_b64 v[1:2], 3, v[1:2]
	v_add_co_u32 v16, vcc_lo, s10, v14
	v_add_co_ci_u32_e64 v17, null, s11, v15, vcc_lo
	v_add_co_u32 v18, vcc_lo, s10, v1
	v_add_co_ci_u32_e64 v19, null, s11, v2, vcc_lo
	s_clause 0x1
	global_load_dwordx2 v[16:17], v[16:17], off
	global_load_dwordx2 v[18:19], v[18:19], off
	s_waitcnt vmcnt(3)
	v_add_f64 v[7:8], v[8:9], -v[12:13]
	s_waitcnt vmcnt(2)
	v_add_f64 v[3:4], v[10:11], -v[3:4]
	v_add_co_u32 v11, vcc_lo, s0, v14
	v_add_co_ci_u32_e64 v12, null, s1, v15, vcc_lo
	v_add_co_u32 v1, vcc_lo, s0, v1
	v_add_co_ci_u32_e64 v2, null, s1, v2, vcc_lo
	v_mul_f64 v[7:8], s[8:9], v[7:8]
	v_mul_f64 v[3:4], s[8:9], v[3:4]
	s_waitcnt vmcnt(1)
	v_fma_f64 v[7:8], 0xc0800000, v[7:8], v[16:17]
	s_waitcnt vmcnt(0)
	v_fma_f64 v[9:10], 0xc0800000, v[3:4], v[18:19]
	global_store_dwordx2 v[11:12], v[7:8], off
	global_store_dwordx2 v[1:2], v[9:10], off
	v_max_f64 v[3:4], |v[7:8]|, |v[9:10]|
	v_cmpx_eq_u32_e32 0x200, v6
	s_cbranch_execz .LBB10_3
; %bb.2:
	v_ashrrev_i32_e32 v6, 31, v5
	v_max_f64 v[3:4], v[3:4], v[3:4]
	v_lshlrev_b64 v[1:2], 3, v[5:6]
	v_add_co_u32 v1, vcc_lo, s0, v1
	v_add_co_ci_u32_e64 v2, null, s1, v2, vcc_lo
	v_add_co_u32 v1, vcc_lo, 0x203000, v1
	v_add_co_ci_u32_e64 v2, null, 0, v2, vcc_lo
	global_load_dwordx2 v[1:2], v[1:2], off offset:16
	s_waitcnt vmcnt(0)
	v_max_f64 v[1:2], |v[1:2]|, |v[1:2]|
	v_max_f64 v[3:4], v[3:4], v[1:2]
.LBB10_3:
	s_or_b32 exec_lo, exec_lo, s16
                                        ; implicit-def: $vgpr7
                                        ; implicit-def: $vgpr6
                                        ; implicit-def: $vgpr1
.LBB10_4:
	s_andn2_saveexec_b32 s3, s3
	s_cbranch_execz .LBB10_6
; %bb.5:
	v_mul_lo_u32 v2, 0x102, v6
	v_cmp_eq_u32_e32 vcc_lo, 0, v7
	s_waitcnt lgkmcnt(0)
	v_mov_b32_e32 v5, s12
	v_mov_b32_e32 v4, s13
	;; [unrolled: 1-line block ×4, first 2 shown]
	v_cndmask_b32_e32 v5, s14, v5, vcc_lo
	v_ashrrev_i32_e32 v3, 31, v2
	v_cndmask_b32_e32 v4, s15, v4, vcc_lo
	v_cndmask_b32_e32 v7, s12, v7, vcc_lo
	;; [unrolled: 1-line block ×3, first 2 shown]
	v_lshlrev_b64 v[2:3], 3, v[2:3]
	v_add_co_u32 v5, vcc_lo, v5, v2
	v_add_co_ci_u32_e64 v4, null, v4, v3, vcc_lo
	v_add_co_u32 v7, vcc_lo, v7, v2
	v_add_co_ci_u32_e64 v6, null, v6, v3, vcc_lo
	;; [unrolled: 2-line block ×4, first 2 shown]
	global_load_dwordx2 v[6:7], v[2:3], off
	global_load_dwordx2 v[8:9], v[4:5], off
	v_ashrrev_i32_e32 v2, 31, v1
	v_lshlrev_b64 v[1:2], 3, v[1:2]
	v_add_co_u32 v10, vcc_lo, s0, v1
	v_add_co_ci_u32_e64 v11, null, s1, v2, vcc_lo
	v_add_co_u32 v14, vcc_lo, 0xff8, v1
	v_add_co_ci_u32_e64 v15, null, 0, v2, vcc_lo
	;; [unrolled: 2-line block ×4, first 2 shown]
	global_load_dwordx4 v[1:4], v[1:2], off
	global_load_dwordx2 v[12:13], v[12:13], off
	global_load_dwordx2 v[10:11], v[10:11], off
	s_waitcnt vmcnt(3)
	v_add_f64 v[5:6], v[8:9], -v[6:7]
	v_mul_f64 v[5:6], s[8:9], v[5:6]
	s_waitcnt vmcnt(2)
	v_max_f64 v[1:2], |v[1:2]|, |v[1:2]|
	v_max_f64 v[3:4], |v[3:4]|, |v[3:4]|
	s_waitcnt vmcnt(0)
	v_max_f64 v[7:8], |v[10:11]|, |v[10:11]|
	v_fma_f64 v[5:6], 0xc0800000, v[5:6], v[12:13]
	v_max_f64 v[1:2], v[1:2], |v[5:6]|
	v_max_f64 v[1:2], v[7:8], v[1:2]
	v_max_f64 v[3:4], v[3:4], v[1:2]
	v_add_co_u32 v1, vcc_lo, s0, v14
	v_add_co_ci_u32_e64 v2, null, s1, v15, vcc_lo
	global_store_dwordx2 v[1:2], v[5:6], off
.LBB10_6:
	s_or_b32 exec_lo, exec_lo, s3
	v_lshlrev_b32_e32 v1, 3, v0
	s_mov_b32 s0, exec_lo
	ds_write_b64 v1, v[3:4]
	s_waitcnt lgkmcnt(0)
	s_waitcnt_vscnt null, 0x0
	s_barrier
	buffer_gl0_inv
	v_cmpx_gt_u32_e32 64, v0
	s_cbranch_execz .LBB10_8
; %bb.7:
	ds_read2st64_b64 v[2:5], v1 offset1:1
	s_waitcnt lgkmcnt(0)
	v_max_f64 v[4:5], v[4:5], v[4:5]
	v_max_f64 v[2:3], v[2:3], v[2:3]
	;; [unrolled: 1-line block ×3, first 2 shown]
	ds_write_b64 v1, v[2:3]
.LBB10_8:
	s_or_b32 exec_lo, exec_lo, s0
	s_mov_b32 s0, exec_lo
	s_waitcnt lgkmcnt(0)
	s_barrier
	buffer_gl0_inv
	v_cmpx_gt_u32_e32 32, v0
	s_cbranch_execz .LBB10_10
; %bb.9:
	ds_read2_b64 v[2:5], v1 offset1:32
	s_waitcnt lgkmcnt(0)
	v_max_f64 v[4:5], v[4:5], v[4:5]
	v_max_f64 v[2:3], v[2:3], v[2:3]
	v_max_f64 v[2:3], v[2:3], v[4:5]
	ds_write_b64 v1, v[2:3]
.LBB10_10:
	s_or_b32 exec_lo, exec_lo, s0
	s_mov_b32 s0, exec_lo
	s_waitcnt lgkmcnt(0)
	s_barrier
	buffer_gl0_inv
	v_cmpx_gt_u32_e32 16, v0
	s_cbranch_execz .LBB10_12
; %bb.11:
	ds_read2_b64 v[2:5], v1 offset1:16
	s_waitcnt lgkmcnt(0)
	v_max_f64 v[4:5], v[4:5], v[4:5]
	v_max_f64 v[2:3], v[2:3], v[2:3]
	v_max_f64 v[2:3], v[2:3], v[4:5]
	ds_write_b64 v1, v[2:3]
.LBB10_12:
	;; [unrolled: 15-line block ×5, first 2 shown]
	s_or_b32 exec_lo, exec_lo, s0
	v_cmp_eq_u32_e32 vcc_lo, 0, v0
	s_waitcnt lgkmcnt(0)
	s_barrier
	buffer_gl0_inv
	s_and_saveexec_b32 s0, vcc_lo
	s_cbranch_execz .LBB10_20
; %bb.19:
	ds_read2_b64 v[2:5], v1 offset1:1
	s_waitcnt lgkmcnt(0)
	v_max_f64 v[4:5], v[4:5], v[4:5]
	v_max_f64 v[2:3], v[2:3], v[2:3]
	;; [unrolled: 1-line block ×3, first 2 shown]
	ds_write_b64 v1, v[2:3]
.LBB10_20:
	s_or_b32 exec_lo, exec_lo, s0
	s_waitcnt lgkmcnt(0)
	s_barrier
	buffer_gl0_inv
	s_and_saveexec_b32 s0, vcc_lo
	s_cbranch_execz .LBB10_22
; %bb.21:
	v_mov_b32_e32 v2, 0
	s_load_dwordx2 s[0:1], s[4:5], 0x28
	s_mul_i32 s2, s2, s6
	s_mov_b32 s3, 0
	s_add_i32 s2, s2, s7
	ds_read_b64 v[0:1], v2
	s_lshl_b64 s[2:3], s[2:3], 3
	s_waitcnt lgkmcnt(0)
	s_add_u32 s0, s0, s2
	s_addc_u32 s1, s1, s3
	global_store_dwordx2 v2, v[0:1], s[0:1]
.LBB10_22:
	s_endpgm
	.section	.rodata,"a",@progbits
	.p2align	6, 0x0
	.amdhsa_kernel _Z11calculate_vdPKdS0_S0_PdS1_
		.amdhsa_group_segment_fixed_size 1024
		.amdhsa_private_segment_fixed_size 0
		.amdhsa_kernarg_size 304
		.amdhsa_user_sgpr_count 6
		.amdhsa_user_sgpr_private_segment_buffer 1
		.amdhsa_user_sgpr_dispatch_ptr 0
		.amdhsa_user_sgpr_queue_ptr 0
		.amdhsa_user_sgpr_kernarg_segment_ptr 1
		.amdhsa_user_sgpr_dispatch_id 0
		.amdhsa_user_sgpr_flat_scratch_init 0
		.amdhsa_user_sgpr_private_segment_size 0
		.amdhsa_wavefront_size32 1
		.amdhsa_uses_dynamic_stack 0
		.amdhsa_system_sgpr_private_segment_wavefront_offset 0
		.amdhsa_system_sgpr_workgroup_id_x 1
		.amdhsa_system_sgpr_workgroup_id_y 1
		.amdhsa_system_sgpr_workgroup_id_z 0
		.amdhsa_system_sgpr_workgroup_info 0
		.amdhsa_system_vgpr_workitem_id 1
		.amdhsa_next_free_vgpr 20
		.amdhsa_next_free_sgpr 17
		.amdhsa_reserve_vcc 1
		.amdhsa_reserve_flat_scratch 0
		.amdhsa_float_round_mode_32 0
		.amdhsa_float_round_mode_16_64 0
		.amdhsa_float_denorm_mode_32 3
		.amdhsa_float_denorm_mode_16_64 3
		.amdhsa_dx10_clamp 1
		.amdhsa_ieee_mode 1
		.amdhsa_fp16_overflow 0
		.amdhsa_workgroup_processor_mode 1
		.amdhsa_memory_ordered 1
		.amdhsa_forward_progress 1
		.amdhsa_shared_vgpr_count 0
		.amdhsa_exception_fp_ieee_invalid_op 0
		.amdhsa_exception_fp_denorm_src 0
		.amdhsa_exception_fp_ieee_div_zero 0
		.amdhsa_exception_fp_ieee_overflow 0
		.amdhsa_exception_fp_ieee_underflow 0
		.amdhsa_exception_fp_ieee_inexact 0
		.amdhsa_exception_int_div_zero 0
	.end_amdhsa_kernel
	.text
.Lfunc_end10:
	.size	_Z11calculate_vdPKdS0_S0_PdS1_, .Lfunc_end10-_Z11calculate_vdPKdS0_S0_PdS1_
                                        ; -- End function
	.set _Z11calculate_vdPKdS0_S0_PdS1_.num_vgpr, 20
	.set _Z11calculate_vdPKdS0_S0_PdS1_.num_agpr, 0
	.set _Z11calculate_vdPKdS0_S0_PdS1_.numbered_sgpr, 17
	.set _Z11calculate_vdPKdS0_S0_PdS1_.num_named_barrier, 0
	.set _Z11calculate_vdPKdS0_S0_PdS1_.private_seg_size, 0
	.set _Z11calculate_vdPKdS0_S0_PdS1_.uses_vcc, 1
	.set _Z11calculate_vdPKdS0_S0_PdS1_.uses_flat_scratch, 0
	.set _Z11calculate_vdPKdS0_S0_PdS1_.has_dyn_sized_stack, 0
	.set _Z11calculate_vdPKdS0_S0_PdS1_.has_recursion, 0
	.set _Z11calculate_vdPKdS0_S0_PdS1_.has_indirect_call, 0
	.section	.AMDGPU.csdata,"",@progbits
; Kernel info:
; codeLenInByte = 1620
; TotalNumSgprs: 19
; NumVgprs: 20
; ScratchSize: 0
; MemoryBound: 0
; FloatMode: 240
; IeeeMode: 1
; LDSByteSize: 1024 bytes/workgroup (compile time only)
; SGPRBlocks: 0
; VGPRBlocks: 2
; NumSGPRsForWavesPerEU: 19
; NumVGPRsForWavesPerEU: 20
; Occupancy: 16
; WaveLimiterHint : 1
; COMPUTE_PGM_RSRC2:SCRATCH_EN: 0
; COMPUTE_PGM_RSRC2:USER_SGPR: 6
; COMPUTE_PGM_RSRC2:TRAP_HANDLER: 0
; COMPUTE_PGM_RSRC2:TGID_X_EN: 1
; COMPUTE_PGM_RSRC2:TGID_Y_EN: 1
; COMPUTE_PGM_RSRC2:TGID_Z_EN: 0
; COMPUTE_PGM_RSRC2:TIDIG_COMP_CNT: 1
	.text
	.p2alignl 6, 3214868480
	.fill 48, 4, 3214868480
	.section	.AMDGPU.gpr_maximums,"",@progbits
	.set amdgpu.max_num_vgpr, 0
	.set amdgpu.max_num_agpr, 0
	.set amdgpu.max_num_sgpr, 0
	.text
	.type	__hip_cuid_af13ead570ef85c0,@object ; @__hip_cuid_af13ead570ef85c0
	.section	.bss,"aw",@nobits
	.globl	__hip_cuid_af13ead570ef85c0
__hip_cuid_af13ead570ef85c0:
	.byte	0                               ; 0x0
	.size	__hip_cuid_af13ead570ef85c0, 1

	.ident	"AMD clang version 22.0.0git (https://github.com/RadeonOpenCompute/llvm-project roc-7.2.4 26084 f58b06dce1f9c15707c5f808fd002e18c2accf7e)"
	.section	".note.GNU-stack","",@progbits
	.addrsig
	.addrsig_sym __hip_cuid_af13ead570ef85c0
	.amdgpu_metadata
---
amdhsa.kernels:
  - .args:
      - .address_space:  global
        .offset:         0
        .size:           8
        .value_kind:     global_buffer
      - .address_space:  global
        .offset:         8
        .size:           8
        .value_kind:     global_buffer
      - .offset:         16
        .size:           4
        .value_kind:     hidden_block_count_x
      - .offset:         20
        .size:           4
        .value_kind:     hidden_block_count_y
      - .offset:         24
        .size:           4
        .value_kind:     hidden_block_count_z
      - .offset:         28
        .size:           2
        .value_kind:     hidden_group_size_x
      - .offset:         30
        .size:           2
        .value_kind:     hidden_group_size_y
      - .offset:         32
        .size:           2
        .value_kind:     hidden_group_size_z
      - .offset:         34
        .size:           2
        .value_kind:     hidden_remainder_x
      - .offset:         36
        .size:           2
        .value_kind:     hidden_remainder_y
      - .offset:         38
        .size:           2
        .value_kind:     hidden_remainder_z
      - .offset:         56
        .size:           8
        .value_kind:     hidden_global_offset_x
      - .offset:         64
        .size:           8
        .value_kind:     hidden_global_offset_y
      - .offset:         72
        .size:           8
        .value_kind:     hidden_global_offset_z
      - .offset:         80
        .size:           2
        .value_kind:     hidden_grid_dims
    .group_segment_fixed_size: 0
    .kernarg_segment_align: 8
    .kernarg_segment_size: 272
    .language:       OpenCL C
    .language_version:
      - 2
      - 0
    .max_flat_workgroup_size: 1024
    .name:           _Z7set_BCsPdS_
    .private_segment_fixed_size: 0
    .sgpr_count:     10
    .sgpr_spill_count: 0
    .symbol:         _Z7set_BCsPdS_.kd
    .uniform_work_group_size: 1
    .uses_dynamic_stack: false
    .vgpr_count:     24
    .vgpr_spill_count: 0
    .wavefront_size: 32
    .workgroup_processor_mode: 1
  - .args:
      - .offset:         0
        .size:           8
        .value_kind:     by_value
      - .actual_access:  read_only
        .address_space:  global
        .offset:         8
        .size:           8
        .value_kind:     global_buffer
      - .actual_access:  read_only
        .address_space:  global
        .offset:         16
        .size:           8
        .value_kind:     global_buffer
      - .actual_access:  write_only
        .address_space:  global
        .offset:         24
        .size:           8
        .value_kind:     global_buffer
      - .offset:         32
        .size:           4
        .value_kind:     hidden_block_count_x
      - .offset:         36
        .size:           4
        .value_kind:     hidden_block_count_y
      - .offset:         40
        .size:           4
        .value_kind:     hidden_block_count_z
      - .offset:         44
        .size:           2
        .value_kind:     hidden_group_size_x
      - .offset:         46
        .size:           2
        .value_kind:     hidden_group_size_y
      - .offset:         48
        .size:           2
        .value_kind:     hidden_group_size_z
      - .offset:         50
        .size:           2
        .value_kind:     hidden_remainder_x
      - .offset:         52
        .size:           2
        .value_kind:     hidden_remainder_y
      - .offset:         54
        .size:           2
        .value_kind:     hidden_remainder_z
      - .offset:         72
        .size:           8
        .value_kind:     hidden_global_offset_x
      - .offset:         80
        .size:           8
        .value_kind:     hidden_global_offset_y
      - .offset:         88
        .size:           8
        .value_kind:     hidden_global_offset_z
      - .offset:         96
        .size:           2
        .value_kind:     hidden_grid_dims
    .group_segment_fixed_size: 0
    .kernarg_segment_align: 8
    .kernarg_segment_size: 288
    .language:       OpenCL C
    .language_version:
      - 2
      - 0
    .max_flat_workgroup_size: 1024
    .name:           _Z11calculate_FdPKdS0_Pd
    .private_segment_fixed_size: 0
    .sgpr_count:     12
    .sgpr_spill_count: 0
    .symbol:         _Z11calculate_FdPKdS0_Pd.kd
    .uniform_work_group_size: 1
    .uses_dynamic_stack: false
    .vgpr_count:     36
    .vgpr_spill_count: 0
    .wavefront_size: 32
    .workgroup_processor_mode: 1
  - .args:
      - .offset:         0
        .size:           8
        .value_kind:     by_value
      - .actual_access:  read_only
        .address_space:  global
        .offset:         8
        .size:           8
        .value_kind:     global_buffer
      - .actual_access:  read_only
        .address_space:  global
        .offset:         16
        .size:           8
        .value_kind:     global_buffer
      - .actual_access:  write_only
        .address_space:  global
        .offset:         24
        .size:           8
        .value_kind:     global_buffer
      - .offset:         32
        .size:           4
        .value_kind:     hidden_block_count_x
      - .offset:         36
        .size:           4
        .value_kind:     hidden_block_count_y
      - .offset:         40
        .size:           4
        .value_kind:     hidden_block_count_z
      - .offset:         44
        .size:           2
        .value_kind:     hidden_group_size_x
      - .offset:         46
        .size:           2
        .value_kind:     hidden_group_size_y
      - .offset:         48
        .size:           2
        .value_kind:     hidden_group_size_z
      - .offset:         50
        .size:           2
        .value_kind:     hidden_remainder_x
      - .offset:         52
        .size:           2
        .value_kind:     hidden_remainder_y
      - .offset:         54
        .size:           2
        .value_kind:     hidden_remainder_z
      - .offset:         72
        .size:           8
        .value_kind:     hidden_global_offset_x
      - .offset:         80
        .size:           8
        .value_kind:     hidden_global_offset_y
      - .offset:         88
        .size:           8
        .value_kind:     hidden_global_offset_z
      - .offset:         96
        .size:           2
        .value_kind:     hidden_grid_dims
    .group_segment_fixed_size: 0
    .kernarg_segment_align: 8
    .kernarg_segment_size: 288
    .language:       OpenCL C
    .language_version:
      - 2
      - 0
    .max_flat_workgroup_size: 1024
    .name:           _Z11calculate_GdPKdS0_Pd
    .private_segment_fixed_size: 0
    .sgpr_count:     12
    .sgpr_spill_count: 0
    .symbol:         _Z11calculate_GdPKdS0_Pd.kd
    .uniform_work_group_size: 1
    .uses_dynamic_stack: false
    .vgpr_count:     36
    .vgpr_spill_count: 0
    .wavefront_size: 32
    .workgroup_processor_mode: 1
  - .args:
      - .actual_access:  read_only
        .address_space:  global
        .offset:         0
        .size:           8
        .value_kind:     global_buffer
      - .actual_access:  read_only
        .address_space:  global
        .offset:         8
        .size:           8
        .value_kind:     global_buffer
      - .actual_access:  write_only
        .address_space:  global
        .offset:         16
        .size:           8
        .value_kind:     global_buffer
      - .offset:         24
        .size:           4
        .value_kind:     hidden_block_count_x
      - .offset:         28
        .size:           4
        .value_kind:     hidden_block_count_y
      - .offset:         32
        .size:           4
        .value_kind:     hidden_block_count_z
      - .offset:         36
        .size:           2
        .value_kind:     hidden_group_size_x
      - .offset:         38
        .size:           2
        .value_kind:     hidden_group_size_y
      - .offset:         40
        .size:           2
        .value_kind:     hidden_group_size_z
      - .offset:         42
        .size:           2
        .value_kind:     hidden_remainder_x
      - .offset:         44
        .size:           2
        .value_kind:     hidden_remainder_y
      - .offset:         46
        .size:           2
        .value_kind:     hidden_remainder_z
      - .offset:         64
        .size:           8
        .value_kind:     hidden_global_offset_x
      - .offset:         72
        .size:           8
        .value_kind:     hidden_global_offset_y
      - .offset:         80
        .size:           8
        .value_kind:     hidden_global_offset_z
      - .offset:         88
        .size:           2
        .value_kind:     hidden_grid_dims
    .group_segment_fixed_size: 1024
    .kernarg_segment_align: 8
    .kernarg_segment_size: 280
    .language:       OpenCL C
    .language_version:
      - 2
      - 0
    .max_flat_workgroup_size: 1024
    .name:           _Z12sum_pressurePKdS0_Pd
    .private_segment_fixed_size: 0
    .sgpr_count:     14
    .sgpr_spill_count: 0
    .symbol:         _Z12sum_pressurePKdS0_Pd.kd
    .uniform_work_group_size: 1
    .uses_dynamic_stack: false
    .vgpr_count:     6
    .vgpr_spill_count: 0
    .wavefront_size: 32
    .workgroup_processor_mode: 1
  - .args:
      - .address_space:  global
        .offset:         0
        .size:           8
        .value_kind:     global_buffer
      - .address_space:  global
        .offset:         8
        .size:           8
        .value_kind:     global_buffer
      - .offset:         16
        .size:           4
        .value_kind:     hidden_block_count_x
      - .offset:         20
        .size:           4
        .value_kind:     hidden_block_count_y
      - .offset:         24
        .size:           4
        .value_kind:     hidden_block_count_z
      - .offset:         28
        .size:           2
        .value_kind:     hidden_group_size_x
      - .offset:         30
        .size:           2
        .value_kind:     hidden_group_size_y
      - .offset:         32
        .size:           2
        .value_kind:     hidden_group_size_z
      - .offset:         34
        .size:           2
        .value_kind:     hidden_remainder_x
      - .offset:         36
        .size:           2
        .value_kind:     hidden_remainder_y
      - .offset:         38
        .size:           2
        .value_kind:     hidden_remainder_z
      - .offset:         56
        .size:           8
        .value_kind:     hidden_global_offset_x
      - .offset:         64
        .size:           8
        .value_kind:     hidden_global_offset_y
      - .offset:         72
        .size:           8
        .value_kind:     hidden_global_offset_z
      - .offset:         80
        .size:           2
        .value_kind:     hidden_grid_dims
    .group_segment_fixed_size: 0
    .kernarg_segment_align: 8
    .kernarg_segment_size: 272
    .language:       OpenCL C
    .language_version:
      - 2
      - 0
    .max_flat_workgroup_size: 1024
    .name:           _Z17set_horz_pres_BCsPdS_
    .private_segment_fixed_size: 0
    .sgpr_count:     9
    .sgpr_spill_count: 0
    .symbol:         _Z17set_horz_pres_BCsPdS_.kd
    .uniform_work_group_size: 1
    .uses_dynamic_stack: false
    .vgpr_count:     16
    .vgpr_spill_count: 0
    .wavefront_size: 32
    .workgroup_processor_mode: 1
  - .args:
      - .address_space:  global
        .offset:         0
        .size:           8
        .value_kind:     global_buffer
      - .address_space:  global
        .offset:         8
        .size:           8
        .value_kind:     global_buffer
      - .offset:         16
        .size:           4
        .value_kind:     hidden_block_count_x
      - .offset:         20
        .size:           4
        .value_kind:     hidden_block_count_y
      - .offset:         24
        .size:           4
        .value_kind:     hidden_block_count_z
      - .offset:         28
        .size:           2
        .value_kind:     hidden_group_size_x
      - .offset:         30
        .size:           2
        .value_kind:     hidden_group_size_y
      - .offset:         32
        .size:           2
        .value_kind:     hidden_group_size_z
      - .offset:         34
        .size:           2
        .value_kind:     hidden_remainder_x
      - .offset:         36
        .size:           2
        .value_kind:     hidden_remainder_y
      - .offset:         38
        .size:           2
        .value_kind:     hidden_remainder_z
      - .offset:         56
        .size:           8
        .value_kind:     hidden_global_offset_x
      - .offset:         64
        .size:           8
        .value_kind:     hidden_global_offset_y
      - .offset:         72
        .size:           8
        .value_kind:     hidden_global_offset_z
      - .offset:         80
        .size:           2
        .value_kind:     hidden_grid_dims
    .group_segment_fixed_size: 0
    .kernarg_segment_align: 8
    .kernarg_segment_size: 272
    .language:       OpenCL C
    .language_version:
      - 2
      - 0
    .max_flat_workgroup_size: 1024
    .name:           _Z17set_vert_pres_BCsPdS_
    .private_segment_fixed_size: 0
    .sgpr_count:     9
    .sgpr_spill_count: 0
    .symbol:         _Z17set_vert_pres_BCsPdS_.kd
    .uniform_work_group_size: 1
    .uses_dynamic_stack: false
    .vgpr_count:     17
    .vgpr_spill_count: 0
    .wavefront_size: 32
    .workgroup_processor_mode: 1
  - .args:
      - .offset:         0
        .size:           8
        .value_kind:     by_value
      - .actual_access:  read_only
        .address_space:  global
        .offset:         8
        .size:           8
        .value_kind:     global_buffer
      - .actual_access:  read_only
        .address_space:  global
        .offset:         16
        .size:           8
        .value_kind:     global_buffer
      - .actual_access:  read_only
        .address_space:  global
        .offset:         24
        .size:           8
        .value_kind:     global_buffer
      - .address_space:  global
        .offset:         32
        .size:           8
        .value_kind:     global_buffer
      - .offset:         40
        .size:           4
        .value_kind:     hidden_block_count_x
      - .offset:         44
        .size:           4
        .value_kind:     hidden_block_count_y
      - .offset:         48
        .size:           4
        .value_kind:     hidden_block_count_z
      - .offset:         52
        .size:           2
        .value_kind:     hidden_group_size_x
      - .offset:         54
        .size:           2
        .value_kind:     hidden_group_size_y
      - .offset:         56
        .size:           2
        .value_kind:     hidden_group_size_z
      - .offset:         58
        .size:           2
        .value_kind:     hidden_remainder_x
      - .offset:         60
        .size:           2
        .value_kind:     hidden_remainder_y
      - .offset:         62
        .size:           2
        .value_kind:     hidden_remainder_z
      - .offset:         80
        .size:           8
        .value_kind:     hidden_global_offset_x
      - .offset:         88
        .size:           8
        .value_kind:     hidden_global_offset_y
      - .offset:         96
        .size:           8
        .value_kind:     hidden_global_offset_z
      - .offset:         104
        .size:           2
        .value_kind:     hidden_grid_dims
    .group_segment_fixed_size: 0
    .kernarg_segment_align: 8
    .kernarg_segment_size: 296
    .language:       OpenCL C
    .language_version:
      - 2
      - 0
    .max_flat_workgroup_size: 1024
    .name:           _Z10red_kerneldPKdS0_S0_Pd
    .private_segment_fixed_size: 0
    .sgpr_count:     18
    .sgpr_spill_count: 0
    .symbol:         _Z10red_kerneldPKdS0_S0_Pd.kd
    .uniform_work_group_size: 1
    .uses_dynamic_stack: false
    .vgpr_count:     24
    .vgpr_spill_count: 0
    .wavefront_size: 32
    .workgroup_processor_mode: 1
  - .args:
      - .offset:         0
        .size:           8
        .value_kind:     by_value
      - .actual_access:  read_only
        .address_space:  global
        .offset:         8
        .size:           8
        .value_kind:     global_buffer
      - .actual_access:  read_only
        .address_space:  global
        .offset:         16
        .size:           8
        .value_kind:     global_buffer
      - .actual_access:  read_only
        .address_space:  global
        .offset:         24
        .size:           8
        .value_kind:     global_buffer
      - .address_space:  global
        .offset:         32
        .size:           8
        .value_kind:     global_buffer
      - .offset:         40
        .size:           4
        .value_kind:     hidden_block_count_x
      - .offset:         44
        .size:           4
        .value_kind:     hidden_block_count_y
      - .offset:         48
        .size:           4
        .value_kind:     hidden_block_count_z
      - .offset:         52
        .size:           2
        .value_kind:     hidden_group_size_x
      - .offset:         54
        .size:           2
        .value_kind:     hidden_group_size_y
      - .offset:         56
        .size:           2
        .value_kind:     hidden_group_size_z
      - .offset:         58
        .size:           2
        .value_kind:     hidden_remainder_x
      - .offset:         60
        .size:           2
        .value_kind:     hidden_remainder_y
      - .offset:         62
        .size:           2
        .value_kind:     hidden_remainder_z
      - .offset:         80
        .size:           8
        .value_kind:     hidden_global_offset_x
      - .offset:         88
        .size:           8
        .value_kind:     hidden_global_offset_y
      - .offset:         96
        .size:           8
        .value_kind:     hidden_global_offset_z
      - .offset:         104
        .size:           2
        .value_kind:     hidden_grid_dims
    .group_segment_fixed_size: 0
    .kernarg_segment_align: 8
    .kernarg_segment_size: 296
    .language:       OpenCL C
    .language_version:
      - 2
      - 0
    .max_flat_workgroup_size: 1024
    .name:           _Z12black_kerneldPKdS0_S0_Pd
    .private_segment_fixed_size: 0
    .sgpr_count:     18
    .sgpr_spill_count: 0
    .symbol:         _Z12black_kerneldPKdS0_S0_Pd.kd
    .uniform_work_group_size: 1
    .uses_dynamic_stack: false
    .vgpr_count:     24
    .vgpr_spill_count: 0
    .wavefront_size: 32
    .workgroup_processor_mode: 1
  - .args:
      - .offset:         0
        .size:           8
        .value_kind:     by_value
      - .actual_access:  read_only
        .address_space:  global
        .offset:         8
        .size:           8
        .value_kind:     global_buffer
      - .actual_access:  read_only
        .address_space:  global
        .offset:         16
        .size:           8
        .value_kind:     global_buffer
      - .actual_access:  read_only
        .address_space:  global
        .offset:         24
        .size:           8
        .value_kind:     global_buffer
      - .actual_access:  read_only
        .address_space:  global
        .offset:         32
        .size:           8
        .value_kind:     global_buffer
      - .actual_access:  write_only
        .address_space:  global
        .offset:         40
        .size:           8
        .value_kind:     global_buffer
      - .offset:         48
        .size:           4
        .value_kind:     hidden_block_count_x
      - .offset:         52
        .size:           4
        .value_kind:     hidden_block_count_y
      - .offset:         56
        .size:           4
        .value_kind:     hidden_block_count_z
      - .offset:         60
        .size:           2
        .value_kind:     hidden_group_size_x
      - .offset:         62
        .size:           2
        .value_kind:     hidden_group_size_y
      - .offset:         64
        .size:           2
        .value_kind:     hidden_group_size_z
      - .offset:         66
        .size:           2
        .value_kind:     hidden_remainder_x
      - .offset:         68
        .size:           2
        .value_kind:     hidden_remainder_y
      - .offset:         70
        .size:           2
        .value_kind:     hidden_remainder_z
      - .offset:         88
        .size:           8
        .value_kind:     hidden_global_offset_x
      - .offset:         96
        .size:           8
        .value_kind:     hidden_global_offset_y
      - .offset:         104
        .size:           8
        .value_kind:     hidden_global_offset_z
      - .offset:         112
        .size:           2
        .value_kind:     hidden_grid_dims
    .group_segment_fixed_size: 1024
    .kernarg_segment_align: 8
    .kernarg_segment_size: 304
    .language:       OpenCL C
    .language_version:
      - 2
      - 0
    .max_flat_workgroup_size: 1024
    .name:           _Z13calc_residualdPKdS0_S0_S0_Pd
    .private_segment_fixed_size: 0
    .sgpr_count:     18
    .sgpr_spill_count: 0
    .symbol:         _Z13calc_residualdPKdS0_S0_S0_Pd.kd
    .uniform_work_group_size: 1
    .uses_dynamic_stack: false
    .vgpr_count:     43
    .vgpr_spill_count: 0
    .wavefront_size: 32
    .workgroup_processor_mode: 1
  - .args:
      - .offset:         0
        .size:           8
        .value_kind:     by_value
      - .actual_access:  read_only
        .address_space:  global
        .offset:         8
        .size:           8
        .value_kind:     global_buffer
      - .actual_access:  read_only
        .address_space:  global
        .offset:         16
        .size:           8
        .value_kind:     global_buffer
      - .actual_access:  read_only
        .address_space:  global
        .offset:         24
        .size:           8
        .value_kind:     global_buffer
      - .address_space:  global
        .offset:         32
        .size:           8
        .value_kind:     global_buffer
      - .actual_access:  write_only
        .address_space:  global
        .offset:         40
        .size:           8
        .value_kind:     global_buffer
      - .offset:         48
        .size:           4
        .value_kind:     hidden_block_count_x
      - .offset:         52
        .size:           4
        .value_kind:     hidden_block_count_y
      - .offset:         56
        .size:           4
        .value_kind:     hidden_block_count_z
      - .offset:         60
        .size:           2
        .value_kind:     hidden_group_size_x
      - .offset:         62
        .size:           2
        .value_kind:     hidden_group_size_y
      - .offset:         64
        .size:           2
        .value_kind:     hidden_group_size_z
      - .offset:         66
        .size:           2
        .value_kind:     hidden_remainder_x
      - .offset:         68
        .size:           2
        .value_kind:     hidden_remainder_y
      - .offset:         70
        .size:           2
        .value_kind:     hidden_remainder_z
      - .offset:         88
        .size:           8
        .value_kind:     hidden_global_offset_x
      - .offset:         96
        .size:           8
        .value_kind:     hidden_global_offset_y
      - .offset:         104
        .size:           8
        .value_kind:     hidden_global_offset_z
      - .offset:         112
        .size:           2
        .value_kind:     hidden_grid_dims
    .group_segment_fixed_size: 1024
    .kernarg_segment_align: 8
    .kernarg_segment_size: 304
    .language:       OpenCL C
    .language_version:
      - 2
      - 0
    .max_flat_workgroup_size: 1024
    .name:           _Z11calculate_udPKdS0_S0_PdS1_
    .private_segment_fixed_size: 0
    .sgpr_count:     18
    .sgpr_spill_count: 0
    .symbol:         _Z11calculate_udPKdS0_S0_PdS1_.kd
    .uniform_work_group_size: 1
    .uses_dynamic_stack: false
    .vgpr_count:     19
    .vgpr_spill_count: 0
    .wavefront_size: 32
    .workgroup_processor_mode: 1
  - .args:
      - .offset:         0
        .size:           8
        .value_kind:     by_value
      - .actual_access:  read_only
        .address_space:  global
        .offset:         8
        .size:           8
        .value_kind:     global_buffer
      - .actual_access:  read_only
        .address_space:  global
        .offset:         16
        .size:           8
        .value_kind:     global_buffer
      - .actual_access:  read_only
        .address_space:  global
        .offset:         24
        .size:           8
        .value_kind:     global_buffer
      - .address_space:  global
        .offset:         32
        .size:           8
        .value_kind:     global_buffer
      - .actual_access:  write_only
        .address_space:  global
        .offset:         40
        .size:           8
        .value_kind:     global_buffer
      - .offset:         48
        .size:           4
        .value_kind:     hidden_block_count_x
      - .offset:         52
        .size:           4
        .value_kind:     hidden_block_count_y
      - .offset:         56
        .size:           4
        .value_kind:     hidden_block_count_z
      - .offset:         60
        .size:           2
        .value_kind:     hidden_group_size_x
      - .offset:         62
        .size:           2
        .value_kind:     hidden_group_size_y
      - .offset:         64
        .size:           2
        .value_kind:     hidden_group_size_z
      - .offset:         66
        .size:           2
        .value_kind:     hidden_remainder_x
      - .offset:         68
        .size:           2
        .value_kind:     hidden_remainder_y
      - .offset:         70
        .size:           2
        .value_kind:     hidden_remainder_z
      - .offset:         88
        .size:           8
        .value_kind:     hidden_global_offset_x
      - .offset:         96
        .size:           8
        .value_kind:     hidden_global_offset_y
      - .offset:         104
        .size:           8
        .value_kind:     hidden_global_offset_z
      - .offset:         112
        .size:           2
        .value_kind:     hidden_grid_dims
    .group_segment_fixed_size: 1024
    .kernarg_segment_align: 8
    .kernarg_segment_size: 304
    .language:       OpenCL C
    .language_version:
      - 2
      - 0
    .max_flat_workgroup_size: 1024
    .name:           _Z11calculate_vdPKdS0_S0_PdS1_
    .private_segment_fixed_size: 0
    .sgpr_count:     19
    .sgpr_spill_count: 0
    .symbol:         _Z11calculate_vdPKdS0_S0_PdS1_.kd
    .uniform_work_group_size: 1
    .uses_dynamic_stack: false
    .vgpr_count:     20
    .vgpr_spill_count: 0
    .wavefront_size: 32
    .workgroup_processor_mode: 1
amdhsa.target:   amdgcn-amd-amdhsa--gfx1030
amdhsa.version:
  - 1
  - 2
...

	.end_amdgpu_metadata
